;; amdgpu-corpus repo=ROCm/rocFFT kind=compiled arch=gfx906 opt=O3
	.text
	.amdgcn_target "amdgcn-amd-amdhsa--gfx906"
	.amdhsa_code_object_version 6
	.protected	fft_rtc_back_len1650_factors_11_2_3_5_5_wgs_110_tpt_110_halfLds_half_ip_CI_sbrr_dirReg ; -- Begin function fft_rtc_back_len1650_factors_11_2_3_5_5_wgs_110_tpt_110_halfLds_half_ip_CI_sbrr_dirReg
	.globl	fft_rtc_back_len1650_factors_11_2_3_5_5_wgs_110_tpt_110_halfLds_half_ip_CI_sbrr_dirReg
	.p2align	8
	.type	fft_rtc_back_len1650_factors_11_2_3_5_5_wgs_110_tpt_110_halfLds_half_ip_CI_sbrr_dirReg,@function
fft_rtc_back_len1650_factors_11_2_3_5_5_wgs_110_tpt_110_halfLds_half_ip_CI_sbrr_dirReg: ; @fft_rtc_back_len1650_factors_11_2_3_5_5_wgs_110_tpt_110_halfLds_half_ip_CI_sbrr_dirReg
; %bb.0:
	s_load_dwordx2 s[2:3], s[4:5], 0x18
	s_load_dwordx4 s[8:11], s[4:5], 0x0
	s_load_dwordx2 s[14:15], s[4:5], 0x50
	v_mul_u32_u24_e32 v1, 0x254, v0
	v_add_u32_sdwa v5, s6, v1 dst_sel:DWORD dst_unused:UNUSED_PAD src0_sel:DWORD src1_sel:WORD_1
	s_waitcnt lgkmcnt(0)
	s_load_dwordx2 s[12:13], s[2:3], 0x0
	v_cmp_lt_u64_e64 s[0:1], s[10:11], 2
	v_mov_b32_e32 v3, 0
	v_mov_b32_e32 v1, 0
	;; [unrolled: 1-line block ×3, first 2 shown]
	s_and_b64 vcc, exec, s[0:1]
	v_mov_b32_e32 v2, 0
	s_cbranch_vccnz .LBB0_8
; %bb.1:
	s_load_dwordx2 s[0:1], s[4:5], 0x10
	s_add_u32 s6, s2, 8
	s_addc_u32 s7, s3, 0
	v_mov_b32_e32 v1, 0
	v_mov_b32_e32 v2, 0
	s_waitcnt lgkmcnt(0)
	s_add_u32 s16, s0, 8
	s_addc_u32 s17, s1, 0
	s_mov_b64 s[18:19], 1
.LBB0_2:                                ; =>This Inner Loop Header: Depth=1
	s_load_dwordx2 s[20:21], s[16:17], 0x0
                                        ; implicit-def: $vgpr7_vgpr8
	s_waitcnt lgkmcnt(0)
	v_or_b32_e32 v4, s21, v6
	v_cmp_ne_u64_e32 vcc, 0, v[3:4]
	s_and_saveexec_b64 s[0:1], vcc
	s_xor_b64 s[22:23], exec, s[0:1]
	s_cbranch_execz .LBB0_4
; %bb.3:                                ;   in Loop: Header=BB0_2 Depth=1
	v_cvt_f32_u32_e32 v4, s20
	v_cvt_f32_u32_e32 v7, s21
	s_sub_u32 s0, 0, s20
	s_subb_u32 s1, 0, s21
	v_mac_f32_e32 v4, 0x4f800000, v7
	v_rcp_f32_e32 v4, v4
	v_mul_f32_e32 v4, 0x5f7ffffc, v4
	v_mul_f32_e32 v7, 0x2f800000, v4
	v_trunc_f32_e32 v7, v7
	v_mac_f32_e32 v4, 0xcf800000, v7
	v_cvt_u32_f32_e32 v7, v7
	v_cvt_u32_f32_e32 v4, v4
	v_mul_lo_u32 v8, s0, v7
	v_mul_hi_u32 v9, s0, v4
	v_mul_lo_u32 v11, s1, v4
	v_mul_lo_u32 v10, s0, v4
	v_add_u32_e32 v8, v9, v8
	v_add_u32_e32 v8, v8, v11
	v_mul_hi_u32 v9, v4, v10
	v_mul_lo_u32 v11, v4, v8
	v_mul_hi_u32 v13, v4, v8
	v_mul_hi_u32 v12, v7, v10
	v_mul_lo_u32 v10, v7, v10
	v_mul_hi_u32 v14, v7, v8
	v_add_co_u32_e32 v9, vcc, v9, v11
	v_addc_co_u32_e32 v11, vcc, 0, v13, vcc
	v_mul_lo_u32 v8, v7, v8
	v_add_co_u32_e32 v9, vcc, v9, v10
	v_addc_co_u32_e32 v9, vcc, v11, v12, vcc
	v_addc_co_u32_e32 v10, vcc, 0, v14, vcc
	v_add_co_u32_e32 v8, vcc, v9, v8
	v_addc_co_u32_e32 v9, vcc, 0, v10, vcc
	v_add_co_u32_e32 v4, vcc, v4, v8
	v_addc_co_u32_e32 v7, vcc, v7, v9, vcc
	v_mul_lo_u32 v8, s0, v7
	v_mul_hi_u32 v9, s0, v4
	v_mul_lo_u32 v10, s1, v4
	v_mul_lo_u32 v11, s0, v4
	v_add_u32_e32 v8, v9, v8
	v_add_u32_e32 v8, v8, v10
	v_mul_lo_u32 v12, v4, v8
	v_mul_hi_u32 v13, v4, v11
	v_mul_hi_u32 v14, v4, v8
	;; [unrolled: 1-line block ×3, first 2 shown]
	v_mul_lo_u32 v11, v7, v11
	v_mul_hi_u32 v9, v7, v8
	v_add_co_u32_e32 v12, vcc, v13, v12
	v_addc_co_u32_e32 v13, vcc, 0, v14, vcc
	v_mul_lo_u32 v8, v7, v8
	v_add_co_u32_e32 v11, vcc, v12, v11
	v_addc_co_u32_e32 v10, vcc, v13, v10, vcc
	v_addc_co_u32_e32 v9, vcc, 0, v9, vcc
	v_add_co_u32_e32 v8, vcc, v10, v8
	v_addc_co_u32_e32 v9, vcc, 0, v9, vcc
	v_add_co_u32_e32 v4, vcc, v4, v8
	v_addc_co_u32_e32 v9, vcc, v7, v9, vcc
	v_mad_u64_u32 v[7:8], s[0:1], v5, v9, 0
	v_mul_hi_u32 v10, v5, v4
	v_add_co_u32_e32 v11, vcc, v10, v7
	v_addc_co_u32_e32 v12, vcc, 0, v8, vcc
	v_mad_u64_u32 v[7:8], s[0:1], v6, v4, 0
	v_mad_u64_u32 v[9:10], s[0:1], v6, v9, 0
	v_add_co_u32_e32 v4, vcc, v11, v7
	v_addc_co_u32_e32 v4, vcc, v12, v8, vcc
	v_addc_co_u32_e32 v7, vcc, 0, v10, vcc
	v_add_co_u32_e32 v4, vcc, v4, v9
	v_addc_co_u32_e32 v9, vcc, 0, v7, vcc
	v_mul_lo_u32 v10, s21, v4
	v_mul_lo_u32 v11, s20, v9
	v_mad_u64_u32 v[7:8], s[0:1], s20, v4, 0
	v_add3_u32 v8, v8, v11, v10
	v_sub_u32_e32 v10, v6, v8
	v_mov_b32_e32 v11, s21
	v_sub_co_u32_e32 v7, vcc, v5, v7
	v_subb_co_u32_e64 v10, s[0:1], v10, v11, vcc
	v_subrev_co_u32_e64 v11, s[0:1], s20, v7
	v_subbrev_co_u32_e64 v10, s[0:1], 0, v10, s[0:1]
	v_cmp_le_u32_e64 s[0:1], s21, v10
	v_cndmask_b32_e64 v12, 0, -1, s[0:1]
	v_cmp_le_u32_e64 s[0:1], s20, v11
	v_cndmask_b32_e64 v11, 0, -1, s[0:1]
	v_cmp_eq_u32_e64 s[0:1], s21, v10
	v_cndmask_b32_e64 v10, v12, v11, s[0:1]
	v_add_co_u32_e64 v11, s[0:1], 2, v4
	v_addc_co_u32_e64 v12, s[0:1], 0, v9, s[0:1]
	v_add_co_u32_e64 v13, s[0:1], 1, v4
	v_addc_co_u32_e64 v14, s[0:1], 0, v9, s[0:1]
	v_subb_co_u32_e32 v8, vcc, v6, v8, vcc
	v_cmp_ne_u32_e64 s[0:1], 0, v10
	v_cmp_le_u32_e32 vcc, s21, v8
	v_cndmask_b32_e64 v10, v14, v12, s[0:1]
	v_cndmask_b32_e64 v12, 0, -1, vcc
	v_cmp_le_u32_e32 vcc, s20, v7
	v_cndmask_b32_e64 v7, 0, -1, vcc
	v_cmp_eq_u32_e32 vcc, s21, v8
	v_cndmask_b32_e32 v7, v12, v7, vcc
	v_cmp_ne_u32_e32 vcc, 0, v7
	v_cndmask_b32_e64 v7, v13, v11, s[0:1]
	v_cndmask_b32_e32 v8, v9, v10, vcc
	v_cndmask_b32_e32 v7, v4, v7, vcc
.LBB0_4:                                ;   in Loop: Header=BB0_2 Depth=1
	s_andn2_saveexec_b64 s[0:1], s[22:23]
	s_cbranch_execz .LBB0_6
; %bb.5:                                ;   in Loop: Header=BB0_2 Depth=1
	v_cvt_f32_u32_e32 v4, s20
	s_sub_i32 s22, 0, s20
	v_rcp_iflag_f32_e32 v4, v4
	v_mul_f32_e32 v4, 0x4f7ffffe, v4
	v_cvt_u32_f32_e32 v4, v4
	v_mul_lo_u32 v7, s22, v4
	v_mul_hi_u32 v7, v4, v7
	v_add_u32_e32 v4, v4, v7
	v_mul_hi_u32 v4, v5, v4
	v_mul_lo_u32 v7, v4, s20
	v_add_u32_e32 v8, 1, v4
	v_sub_u32_e32 v7, v5, v7
	v_subrev_u32_e32 v9, s20, v7
	v_cmp_le_u32_e32 vcc, s20, v7
	v_cndmask_b32_e32 v7, v7, v9, vcc
	v_cndmask_b32_e32 v4, v4, v8, vcc
	v_add_u32_e32 v8, 1, v4
	v_cmp_le_u32_e32 vcc, s20, v7
	v_cndmask_b32_e32 v7, v4, v8, vcc
	v_mov_b32_e32 v8, v3
.LBB0_6:                                ;   in Loop: Header=BB0_2 Depth=1
	s_or_b64 exec, exec, s[0:1]
	v_mul_lo_u32 v4, v8, s20
	v_mul_lo_u32 v11, v7, s21
	v_mad_u64_u32 v[9:10], s[0:1], v7, s20, 0
	s_load_dwordx2 s[0:1], s[6:7], 0x0
	s_add_u32 s18, s18, 1
	v_add3_u32 v4, v10, v11, v4
	v_sub_co_u32_e32 v5, vcc, v5, v9
	v_subb_co_u32_e32 v4, vcc, v6, v4, vcc
	s_waitcnt lgkmcnt(0)
	v_mul_lo_u32 v4, s0, v4
	v_mul_lo_u32 v6, s1, v5
	v_mad_u64_u32 v[1:2], s[0:1], s0, v5, v[1:2]
	s_addc_u32 s19, s19, 0
	s_add_u32 s6, s6, 8
	v_add3_u32 v2, v6, v2, v4
	v_mov_b32_e32 v4, s10
	v_mov_b32_e32 v5, s11
	s_addc_u32 s7, s7, 0
	v_cmp_ge_u64_e32 vcc, s[18:19], v[4:5]
	s_add_u32 s16, s16, 8
	s_addc_u32 s17, s17, 0
	s_cbranch_vccnz .LBB0_9
; %bb.7:                                ;   in Loop: Header=BB0_2 Depth=1
	v_mov_b32_e32 v5, v7
	v_mov_b32_e32 v6, v8
	s_branch .LBB0_2
.LBB0_8:
	v_mov_b32_e32 v8, v6
	v_mov_b32_e32 v7, v5
.LBB0_9:
	s_lshl_b64 s[0:1], s[10:11], 3
	s_add_u32 s0, s2, s0
	s_addc_u32 s1, s3, s1
	s_load_dwordx2 s[2:3], s[0:1], 0x0
	s_load_dwordx2 s[6:7], s[4:5], 0x20
	v_mov_b32_e32 v13, 0
	v_mov_b32_e32 v41, 0
                                        ; implicit-def: $vgpr35
                                        ; implicit-def: $vgpr6
                                        ; implicit-def: $vgpr43
                                        ; implicit-def: $vgpr10
                                        ; implicit-def: $vgpr42
                                        ; implicit-def: $vgpr40
                                        ; implicit-def: $vgpr38
                                        ; implicit-def: $vgpr37
                                        ; implicit-def: $vgpr39
                                        ; implicit-def: $vgpr44
                                        ; implicit-def: $vgpr9
                                        ; implicit-def: $vgpr45
                                        ; implicit-def: $vgpr11
                                        ; implicit-def: $vgpr46
                                        ; implicit-def: $vgpr12
                                        ; implicit-def: $vgpr47
                                        ; implicit-def: $vgpr14
                                        ; implicit-def: $vgpr15
                                        ; implicit-def: $vgpr30
                                        ; implicit-def: $vgpr16
                                        ; implicit-def: $vgpr29
                                        ; implicit-def: $vgpr17
                                        ; implicit-def: $vgpr28
                                        ; implicit-def: $vgpr18
                                        ; implicit-def: $vgpr26
                                        ; implicit-def: $vgpr19
                                        ; implicit-def: $vgpr25
                                        ; implicit-def: $vgpr24
                                        ; implicit-def: $vgpr34
                                        ; implicit-def: $vgpr20
                                        ; implicit-def: $vgpr33
                                        ; implicit-def: $vgpr21
                                        ; implicit-def: $vgpr32
                                        ; implicit-def: $vgpr22
                                        ; implicit-def: $vgpr31
                                        ; implicit-def: $vgpr23
                                        ; implicit-def: $vgpr27
	s_waitcnt lgkmcnt(0)
	v_mad_u64_u32 v[1:2], s[0:1], s2, v7, v[1:2]
	s_mov_b32 s0, 0x253c826
	v_mul_lo_u32 v3, s2, v8
	v_mul_lo_u32 v4, s3, v7
	v_mul_hi_u32 v5, v0, s0
	v_cmp_gt_u64_e32 vcc, s[6:7], v[7:8]
                                        ; implicit-def: $vgpr8
                                        ; implicit-def: $vgpr7
	v_add3_u32 v2, v4, v2, v3
	v_mul_u32_u24_e32 v3, 0x6e, v5
	v_sub_u32_e32 v4, v0, v3
	v_lshlrev_b64 v[0:1], 2, v[1:2]
                                        ; implicit-def: $vgpr5
                                        ; implicit-def: $vgpr2
                                        ; implicit-def: $vgpr3
	s_and_saveexec_b64 s[2:3], vcc
	s_cbranch_execz .LBB0_13
; %bb.10:
	v_mad_u64_u32 v[2:3], s[0:1], s12, v4, 0
	v_add_u32_e32 v9, 0x96, v4
	v_mov_b32_e32 v8, s15
	v_mad_u64_u32 v[5:6], s[0:1], s13, v4, v[3:4]
	v_mad_u64_u32 v[6:7], s[0:1], s12, v9, 0
	v_mov_b32_e32 v3, v5
	v_add_co_u32_e64 v35, s[0:1], s14, v0
	v_mov_b32_e32 v5, v7
	v_addc_co_u32_e64 v36, s[0:1], v8, v1, s[0:1]
	v_mad_u64_u32 v[7:8], s[0:1], s13, v9, v[5:6]
	v_add_u32_e32 v10, 0x12c, v4
	v_mad_u64_u32 v[8:9], s[0:1], s12, v10, 0
	v_lshlrev_b64 v[2:3], 2, v[2:3]
	v_add_u32_e32 v32, 0x546, v4
	v_add_co_u32_e64 v11, s[0:1], v35, v2
	v_mov_b32_e32 v5, v9
	v_addc_co_u32_e64 v12, s[0:1], v36, v3, s[0:1]
	v_lshlrev_b64 v[2:3], 2, v[6:7]
	v_mad_u64_u32 v[5:6], s[0:1], s13, v10, v[5:6]
	v_add_u32_e32 v10, 0x1c2, v4
	v_mad_u64_u32 v[6:7], s[0:1], s12, v10, 0
	v_add_co_u32_e64 v13, s[0:1], v35, v2
	v_mov_b32_e32 v9, v5
	v_mov_b32_e32 v5, v7
	v_addc_co_u32_e64 v14, s[0:1], v36, v3, s[0:1]
	v_lshlrev_b64 v[2:3], 2, v[8:9]
	v_mad_u64_u32 v[7:8], s[0:1], s13, v10, v[5:6]
	v_add_u32_e32 v10, 0x258, v4
	v_mad_u64_u32 v[8:9], s[0:1], s12, v10, 0
	v_add_co_u32_e64 v15, s[0:1], v35, v2
	v_mov_b32_e32 v5, v9
	v_addc_co_u32_e64 v16, s[0:1], v36, v3, s[0:1]
	v_lshlrev_b64 v[2:3], 2, v[6:7]
	v_mad_u64_u32 v[5:6], s[0:1], s13, v10, v[5:6]
	v_add_u32_e32 v10, 0x2ee, v4
	v_mad_u64_u32 v[6:7], s[0:1], s12, v10, 0
	v_add_co_u32_e64 v17, s[0:1], v35, v2
	v_mov_b32_e32 v9, v5
	v_mov_b32_e32 v5, v7
	v_addc_co_u32_e64 v18, s[0:1], v36, v3, s[0:1]
	v_lshlrev_b64 v[2:3], 2, v[8:9]
	v_mad_u64_u32 v[7:8], s[0:1], s13, v10, v[5:6]
	v_add_u32_e32 v10, 0x384, v4
	v_mad_u64_u32 v[8:9], s[0:1], s12, v10, 0
	v_add_co_u32_e64 v19, s[0:1], v35, v2
	v_mov_b32_e32 v5, v9
	v_addc_co_u32_e64 v20, s[0:1], v36, v3, s[0:1]
	v_lshlrev_b64 v[2:3], 2, v[6:7]
	v_mad_u64_u32 v[5:6], s[0:1], s13, v10, v[5:6]
	v_add_u32_e32 v10, 0x41a, v4
	v_mad_u64_u32 v[6:7], s[0:1], s12, v10, 0
	v_add_co_u32_e64 v21, s[0:1], v35, v2
	v_mov_b32_e32 v9, v5
	v_addc_co_u32_e64 v22, s[0:1], v36, v3, s[0:1]
	v_lshlrev_b64 v[2:3], 2, v[8:9]
	v_mov_b32_e32 v5, v7
	v_mad_u64_u32 v[7:8], s[0:1], s13, v10, v[5:6]
	v_add_co_u32_e64 v23, s[0:1], v35, v2
	v_add_u32_e32 v5, 0x4b0, v4
	v_addc_co_u32_e64 v24, s[0:1], v36, v3, s[0:1]
	v_mad_u64_u32 v[25:26], s[0:1], s12, v5, 0
	v_lshlrev_b64 v[2:3], 2, v[6:7]
	v_mov_b32_e32 v41, 0
	v_add_co_u32_e64 v27, s[0:1], v35, v2
	v_mov_b32_e32 v2, v26
	v_addc_co_u32_e64 v28, s[0:1], v36, v3, s[0:1]
	v_mad_u64_u32 v[29:30], s[0:1], s13, v5, v[2:3]
	v_mad_u64_u32 v[30:31], s[0:1], s12, v32, 0
	global_load_dword v6, v[11:12], off
	global_load_dword v10, v[13:14], off
	;; [unrolled: 1-line block ×8, first 2 shown]
	v_add_u32_e32 v18, 0x5dc, v4
	v_mov_b32_e32 v13, v31
	v_mad_u64_u32 v[13:14], s[0:1], s13, v32, v[13:14]
	v_mad_u64_u32 v[14:15], s[0:1], s12, v18, 0
	v_mov_b32_e32 v26, v29
	v_lshlrev_b64 v[11:12], 2, v[25:26]
	v_mov_b32_e32 v31, v13
	v_add_co_u32_e64 v16, s[0:1], v35, v11
	v_mov_b32_e32 v13, v15
	v_addc_co_u32_e64 v17, s[0:1], v36, v12, s[0:1]
	v_mad_u64_u32 v[18:19], s[0:1], s13, v18, v[13:14]
	v_lshlrev_b64 v[11:12], 2, v[30:31]
	v_mov_b32_e32 v13, 0
	v_add_co_u32_e64 v19, s[0:1], v35, v11
	v_mov_b32_e32 v15, v18
	v_addc_co_u32_e64 v20, s[0:1], v36, v12, s[0:1]
	v_lshlrev_b64 v[11:12], 2, v[14:15]
                                        ; implicit-def: $vgpr27
                                        ; implicit-def: $vgpr23
                                        ; implicit-def: $vgpr31
                                        ; implicit-def: $vgpr32
                                        ; implicit-def: $vgpr33
                                        ; implicit-def: $vgpr34
                                        ; implicit-def: $vgpr24
                                        ; implicit-def: $vgpr25
                                        ; implicit-def: $vgpr26
                                        ; implicit-def: $vgpr18
                                        ; implicit-def: $vgpr28
                                        ; implicit-def: $vgpr29
                                        ; implicit-def: $vgpr30
                                        ; implicit-def: $vgpr15
	v_add_co_u32_e64 v21, s[0:1], v35, v11
	v_addc_co_u32_e64 v22, s[0:1], v36, v12, s[0:1]
	global_load_dword v11, v[16:17], off
	global_load_dword v12, v[19:20], off
	;; [unrolled: 1-line block ×3, first 2 shown]
	v_cmp_gt_u32_e64 s[0:1], 40, v4
                                        ; implicit-def: $vgpr22
                                        ; implicit-def: $vgpr21
                                        ; implicit-def: $vgpr20
                                        ; implicit-def: $vgpr19
                                        ; implicit-def: $vgpr17
                                        ; implicit-def: $vgpr16
	s_and_saveexec_b64 s[4:5], s[0:1]
	s_cbranch_execz .LBB0_12
; %bb.11:
	v_add_u32_e32 v19, 0x6e, v4
	v_mad_u64_u32 v[15:16], s[0:1], s12, v19, 0
	v_add_u32_e32 v21, 0x104, v4
	v_mad_u64_u32 v[17:18], s[0:1], s12, v21, 0
	v_mov_b32_e32 v13, v16
	s_waitcnt vmcnt(0)
	v_mad_u64_u32 v[19:20], s[0:1], s13, v19, v[13:14]
	v_mov_b32_e32 v13, v18
	v_add_u32_e32 v23, 0x230, v4
	v_mov_b32_e32 v16, v19
	v_mad_u64_u32 v[18:19], s[0:1], s13, v21, v[13:14]
	v_add_u32_e32 v21, 0x19a, v4
	v_mad_u64_u32 v[19:20], s[0:1], s12, v21, 0
	v_lshlrev_b64 v[15:16], 2, v[15:16]
	v_lshlrev_b64 v[17:18], 2, v[17:18]
	v_add_co_u32_e64 v15, s[0:1], v35, v15
	v_mov_b32_e32 v13, v20
	v_addc_co_u32_e64 v16, s[0:1], v36, v16, s[0:1]
	v_mad_u64_u32 v[20:21], s[0:1], s13, v21, v[13:14]
	v_mad_u64_u32 v[21:22], s[0:1], s12, v23, 0
	v_add_co_u32_e64 v17, s[0:1], v35, v17
	v_mov_b32_e32 v13, v22
	v_addc_co_u32_e64 v18, s[0:1], v36, v18, s[0:1]
	v_mad_u64_u32 v[22:23], s[0:1], s13, v23, v[13:14]
	v_add_u32_e32 v25, 0x2c6, v4
	v_mad_u64_u32 v[23:24], s[0:1], s12, v25, 0
	v_lshlrev_b64 v[19:20], 2, v[19:20]
	v_add_u32_e32 v27, 0x35c, v4
	v_add_co_u32_e64 v19, s[0:1], v35, v19
	v_mov_b32_e32 v13, v24
	v_addc_co_u32_e64 v20, s[0:1], v36, v20, s[0:1]
	v_mad_u64_u32 v[24:25], s[0:1], s13, v25, v[13:14]
	v_mad_u64_u32 v[25:26], s[0:1], s12, v27, 0
	v_lshlrev_b64 v[21:22], 2, v[21:22]
	v_add_u32_e32 v29, 0x3f2, v4
	v_add_co_u32_e64 v21, s[0:1], v35, v21
	v_mov_b32_e32 v13, v26
	v_addc_co_u32_e64 v22, s[0:1], v36, v22, s[0:1]
	v_mad_u64_u32 v[26:27], s[0:1], s13, v27, v[13:14]
	;; [unrolled: 7-line block ×3, first 2 shown]
	v_mad_u64_u32 v[29:30], s[0:1], s12, v31, 0
	v_lshlrev_b64 v[25:26], 2, v[25:26]
	v_add_u32_e32 v34, 0x5b4, v4
	v_add_co_u32_e64 v32, s[0:1], v35, v25
	v_mov_b32_e32 v13, v30
	v_addc_co_u32_e64 v33, s[0:1], v36, v26, s[0:1]
	v_lshlrev_b64 v[25:26], 2, v[27:28]
	v_mad_u64_u32 v[27:28], s[0:1], s13, v31, v[13:14]
	v_add_co_u32_e64 v37, s[0:1], v35, v25
	v_mov_b32_e32 v30, v27
	v_addc_co_u32_e64 v38, s[0:1], v36, v26, s[0:1]
	v_lshlrev_b64 v[25:26], 2, v[29:30]
	v_add_u32_e32 v27, 0x51e, v4
	v_mad_u64_u32 v[39:40], s[0:1], s12, v27, 0
	v_add_co_u32_e64 v42, s[0:1], v35, v25
	v_addc_co_u32_e64 v43, s[0:1], v36, v26, s[0:1]
	v_mad_u64_u32 v[44:45], s[0:1], s12, v34, 0
	v_mov_b32_e32 v13, v40
	v_mad_u64_u32 v[40:41], s[0:1], s13, v27, v[13:14]
	v_mov_b32_e32 v13, v45
	global_load_dword v41, v[15:16], off
	global_load_dword v30, v[17:18], off
	;; [unrolled: 1-line block ×8, first 2 shown]
	v_mad_u64_u32 v[17:18], s[0:1], s13, v34, v[13:14]
	v_add_u32_e32 v22, 0x64a, v4
	v_mad_u64_u32 v[18:19], s[0:1], s12, v22, 0
	v_lshlrev_b64 v[15:16], 2, v[39:40]
	v_mov_b32_e32 v45, v17
	v_add_co_u32_e64 v15, s[0:1], v35, v15
	v_mov_b32_e32 v13, v19
	v_addc_co_u32_e64 v16, s[0:1], v36, v16, s[0:1]
	v_mad_u64_u32 v[22:23], s[0:1], s13, v22, v[13:14]
	v_lshlrev_b64 v[20:21], 2, v[44:45]
	v_mov_b32_e32 v19, v22
	v_add_co_u32_e64 v20, s[0:1], v35, v20
	v_lshlrev_b64 v[17:18], 2, v[18:19]
	v_addc_co_u32_e64 v21, s[0:1], v36, v21, s[0:1]
	v_add_co_u32_e64 v17, s[0:1], v35, v17
	v_addc_co_u32_e64 v18, s[0:1], v36, v18, s[0:1]
	global_load_dword v32, v[15:16], off
	global_load_dword v33, v[20:21], off
	;; [unrolled: 1-line block ×3, first 2 shown]
	s_waitcnt vmcnt(10)
	v_lshrrev_b32_e32 v13, 16, v41
	s_waitcnt vmcnt(9)
	v_lshrrev_b32_e32 v15, 16, v30
	;; [unrolled: 2-line block ×11, first 2 shown]
.LBB0_12:
	s_or_b64 exec, exec, s[4:5]
	s_waitcnt vmcnt(10)
	v_lshrrev_b32_e32 v35, 16, v6
	s_waitcnt vmcnt(9)
	v_lshrrev_b32_e32 v43, 16, v10
	;; [unrolled: 2-line block ×11, first 2 shown]
.LBB0_13:
	s_or_b64 exec, exec, s[2:3]
	v_add_f16_e32 v64, v10, v14
	s_mov_b32 s5, 0xb482
	v_sub_f16_e32 v65, v43, v47
	v_mul_f16_e32 v36, 0xbbad, v64
	v_add_f16_e32 v66, v8, v12
	v_fma_f16 v48, v65, s5, v36
	s_movk_i32 s4, 0x3853
	v_sub_f16_e32 v67, v42, v46
	v_mul_f16_e32 v49, 0x3abb, v66
	v_add_f16_e32 v48, v48, v6
	v_fma_f16 v50, v67, s4, v49
	v_add_f16_e32 v68, v7, v11
	v_add_f16_e32 v48, v50, v48
	s_mov_b32 s7, 0xba0c
	v_sub_f16_e32 v69, v40, v45
	v_mul_f16_e32 v50, 0xb93d, v68
	v_fma_f16 v51, v69, s7, v50
	v_add_f16_e32 v70, v5, v9
	v_add_f16_e32 v48, v51, v48
	s_movk_i32 s6, 0x3b47
	v_sub_f16_e32 v71, v38, v44
	v_mul_f16_e32 v51, 0x36a6, v70
	v_fma_f16 v52, v71, s6, v51
	v_add_f16_e32 v72, v2, v3
	v_add_f16_e32 v48, v52, v48
	s_mov_b32 s10, 0xbbeb
	v_sub_f16_e32 v73, v37, v39
	v_mul_f16_e32 v52, 0xb08e, v72
	s_mov_b32 s18, 0x36a63abb
	v_fma_f16 v53, v73, s10, v52
	s_mov_b32 s11, 0xbb47b853
	v_pk_mul_f16 v74, v64, s18 op_sel_hi:[0,1]
	s_mov_b32 s20, 0xb93d36a6
	v_add_f16_e32 v48, v53, v48
	v_pk_fma_f16 v53, v65, s11, v74 op_sel_hi:[0,1,1]
	s_mov_b32 s16, 0xba0cbb47
	v_pk_mul_f16 v75, v66, s20 op_sel_hi:[0,1]
	s_mov_b32 s22, 0xbbadb08e
	v_pk_add_f16 v53, v53, v6 op_sel_hi:[1,0]
	v_pk_fma_f16 v54, v67, s16, v75 op_sel_hi:[0,1,1]
	s_mov_b32 s17, 0x3482bbeb
	v_pk_mul_f16 v76, v68, s22 op_sel_hi:[0,1]
	s_mov_b32 s23, 0xb08eb93d
	v_pk_add_f16 v53, v54, v53
	v_pk_fma_f16 v54, v69, s17, v76 op_sel_hi:[0,1,1]
	s_mov_b32 s19, 0x3bebba0c
	v_pk_mul_f16 v77, v70, s23 op_sel_hi:[0,1]
	s_mov_b32 s24, 0x3abbbbad
	v_pk_add_f16 v53, v54, v53
	v_pk_fma_f16 v54, v71, s19, v77 op_sel_hi:[0,1,1]
	s_mov_b32 s21, 0x3853b482
	v_pk_mul_f16 v78, v72, s24 op_sel_hi:[0,1]
	v_pk_add_f16 v53, v54, v53
	v_pk_fma_f16 v54, v73, s21, v78 op_sel_hi:[0,1,1]
	s_mov_b32 s0, 0xb93db08e
	v_pk_add_f16 v53, v54, v53
	s_mov_b32 s27, 0xba0cbbeb
	s_mov_b32 s1, 0xb08ebbad
	v_pk_mul_f16 v54, v64, s0 op_sel_hi:[0,1]
	s_mov_b32 s26, 0x3beb3482
	v_pk_fma_f16 v55, v65, s27, v54 op_sel_hi:[0,1,1]
	v_pk_mul_f16 v56, v66, s1 op_sel_hi:[0,1]
	v_pk_add_f16 v55, v55, v6 op_sel_hi:[1,0]
	v_pk_fma_f16 v57, v67, s26, v56 op_sel_hi:[0,1,1]
	s_mov_b32 s2, 0x3abb36a6
	v_pk_add_f16 v55, v57, v55
	s_mov_b32 s28, 0xb8533b47
	v_pk_mul_f16 v57, v68, s2 op_sel_hi:[0,1]
	v_pk_fma_f16 v58, v69, s28, v57 op_sel_hi:[0,1,1]
	s_mov_b32 s3, 0xbbad3abb
	v_pk_add_f16 v55, v58, v55
	s_mov_b32 s29, 0xb482b853
	v_pk_mul_f16 v58, v70, s3 op_sel_hi:[0,1]
	;; [unrolled: 5-line block ×3, first 2 shown]
	v_pk_fma_f16 v60, v73, s30, v59 op_sel_hi:[0,1,1]
	s_mov_b32 s25, 0xffff
	v_pk_add_f16 v55, v60, v55
	v_bfi_b32 v36, s25, v36, v54
	v_mul_f16_e32 v54, 0xb482, v65
	v_pk_mul_f16 v60, v65, s27 op_sel_hi:[0,1]
	v_bfi_b32 v54, s25, v54, v60
	v_pk_add_f16 v36, v36, v54 neg_lo:[0,1] neg_hi:[0,1]
	v_bfi_b32 v49, s25, v49, v56
	v_mul_f16_e32 v54, 0x3853, v67
	v_pk_mul_f16 v56, v67, s26 op_sel_hi:[0,1]
	v_bfi_b32 v54, s25, v54, v56
	v_pk_add_f16 v49, v49, v54 neg_lo:[0,1] neg_hi:[0,1]
	v_pk_add_f16 v36, v36, v6 op_sel_hi:[1,0]
	v_pk_add_f16 v36, v49, v36
	v_bfi_b32 v49, s25, v50, v57
	v_mul_f16_e32 v50, 0xba0c, v69
	v_pk_mul_f16 v54, v69, s28 op_sel_hi:[0,1]
	v_bfi_b32 v50, s25, v50, v54
	v_pk_add_f16 v49, v49, v50 neg_lo:[0,1] neg_hi:[0,1]
	v_pk_add_f16 v36, v49, v36
	v_bfi_b32 v49, s25, v51, v58
	v_mul_f16_e32 v50, 0x3b47, v71
	v_pk_mul_f16 v51, v71, s29 op_sel_hi:[0,1]
	v_bfi_b32 v50, s25, v50, v51
	v_pk_add_f16 v49, v49, v50 neg_lo:[0,1] neg_hi:[0,1]
	v_mul_f16_e32 v50, 0xbbeb, v73
	v_pk_mul_f16 v51, v73, s30 op_sel_hi:[0,1]
	v_pk_add_f16 v36, v49, v36
	v_bfi_b32 v49, s25, v52, v59
	v_bfi_b32 v50, s25, v50, v51
	v_pk_add_f16 v49, v49, v50 neg_lo:[0,1] neg_hi:[0,1]
	v_pk_add_f16 v51, v49, v36
	v_add_f16_e32 v36, v6, v10
	v_add_f16_e32 v36, v36, v8
	v_add_f16_e32 v36, v36, v7
	v_add_f16_e32 v36, v36, v5
	v_add_f16_e32 v36, v36, v2
	v_add_f16_e32 v36, v36, v3
	v_add_f16_e32 v36, v36, v9
	v_add_f16_e32 v36, v36, v11
	v_add_f16_e32 v36, v36, v12
	v_add_f16_e32 v36, v36, v14
	v_alignbit_b32 v50, v48, v55, 16
	v_alignbit_b32 v49, v55, v53, 16
	v_pack_b32_f16 v48, v36, v53
	v_mad_u32_u24 v61, v4, 22, 0
	v_add_f16_e32 v56, v30, v34
	ds_write_b128 v61, v[48:51]
	v_sub_f16_e32 v53, v15, v24
	v_pk_mul_f16 v48, v56, s0 op_sel_hi:[0,1]
	v_add_f16_e32 v58, v29, v33
	v_pk_fma_f16 v36, v53, s27, v48 op_sel_hi:[0,1,1]
	v_sub_f16_e32 v54, v16, v20
	v_pk_mul_f16 v49, v58, s1 op_sel_hi:[0,1]
	v_pk_add_f16 v36, v41, v36 op_sel_hi:[0,1]
	v_pk_fma_f16 v50, v54, s26, v49 op_sel_hi:[0,1,1]
	v_add_f16_e32 v60, v28, v32
	v_pk_add_f16 v36, v36, v50
	v_sub_f16_e32 v55, v17, v21
	v_pk_mul_f16 v50, v60, s2 op_sel_hi:[0,1]
	v_pk_fma_f16 v51, v55, s28, v50 op_sel_hi:[0,1,1]
	v_add_f16_e32 v62, v26, v31
	v_pk_add_f16 v36, v36, v51
	v_sub_f16_e32 v57, v18, v22
	v_pk_mul_f16 v51, v62, s3 op_sel_hi:[0,1]
	v_pk_fma_f16 v52, v57, s29, v51 op_sel_hi:[0,1,1]
	v_add_f16_e32 v63, v25, v27
	s_mov_b32 s33, 0x3b473beb
	v_pk_add_f16 v36, v36, v52
	v_pk_mul_f16 v52, v63, s31 op_sel_hi:[0,1]
	v_fma_f16 v74, v65, s4, v74
	s_mov_b32 s31, 0x36a6b08e
	v_pk_mul_f16 v65, v65, s33 op_sel_hi:[0,1]
	v_pk_fma_f16 v64, v64, s31, v65 op_sel_hi:[0,1,1]
	s_mov_b32 s35, 0x3a0cb482
	v_add_f16_e32 v74, v74, v6
	v_pk_add_f16 v6, v64, v6 op_sel_hi:[1,0]
	s_mov_b32 s34, 0xb93dbbad
	v_pk_mul_f16 v64, v67, s35 op_sel_hi:[0,1]
	v_pk_fma_f16 v64, v66, s34, v64 op_sel_hi:[0,1,1]
	s_mov_b32 s37, 0xb482bb47
	v_pk_add_f16 v6, v64, v6
	s_mov_b32 s36, 0xbbad36a6
	v_pk_mul_f16 v64, v69, s37 op_sel_hi:[0,1]
	v_pk_fma_f16 v64, v68, s36, v64 op_sel_hi:[0,1,1]
	s_mov_b32 s39, 0xbbeb3853
	v_pk_add_f16 v6, v64, v6
	s_mov_b32 s38, 0xb08e3abb
	v_pk_mul_f16 v64, v71, s39 op_sel_hi:[0,1]
	v_fma_f16 v75, v67, s6, v75
	s_movk_i32 s42, 0x3beb
	v_pk_fma_f16 v64, v70, s38, v64 op_sel_hi:[0,1,1]
	s_mov_b32 s41, 0xb8533a0c
	v_sub_f16_e32 v59, v19, v23
	v_add_f16_e32 v74, v75, v74
	v_fma_f16 v75, v69, s42, v76
	s_movk_i32 s43, 0x3a0c
	v_pk_add_f16 v6, v64, v6
	s_mov_b32 s40, 0x3abbb93d
	v_pk_mul_f16 v64, v73, s41 op_sel_hi:[0,1]
	v_pk_fma_f16 v79, v59, s30, v52 op_sel_hi:[0,1,1]
	v_add_f16_e32 v74, v75, v74
	v_fma_f16 v75, v71, s43, v77
	s_movk_i32 s44, 0x3482
	v_pk_fma_f16 v64, v72, s40, v64 op_sel_hi:[0,1,1]
	v_pk_add_f16 v36, v36, v79
	v_add_f16_e32 v74, v75, v74
	v_fma_f16 v75, v73, s44, v78
	v_pk_add_f16 v6, v64, v6
	v_cmp_gt_u32_e64 s[2:3], 40, v4
	v_add_f16_e32 v74, v75, v74
	ds_write_b32 v61, v6 offset:16
	ds_write_b16 v61, v74 offset:20
	s_and_saveexec_b64 s[0:1], s[2:3]
	s_cbranch_execz .LBB0_15
; %bb.14:
	v_pack_b32_f16 v6, v56, v56
	v_mul_f16_e32 v56, 0xbbad, v56
	v_pack_b32_f16 v64, v53, v53
	v_pk_mul_f16 v65, v53, s27 op_sel_hi:[0,1]
	v_pack_b32_f16 v67, v58, v58
	v_mul_f16_e32 v80, 0xb482, v53
	v_mul_f16_e32 v58, 0x3abb, v58
	v_fma_f16 v53, v53, s5, v56
	v_pack_b32_f16 v68, v54, v54
	v_pk_mul_f16 v69, v54, s26 op_sel_hi:[0,1]
	v_pack_b32_f16 v70, v60, v60
	v_mul_f16_e32 v81, 0x3853, v54
	v_mul_f16_e32 v60, 0xb93d, v60
	v_add_f16_e32 v53, v41, v53
	v_fma_f16 v54, v54, s4, v58
	v_pack_b32_f16 v73, v62, v62
	v_mul_f16_e32 v62, 0x36a6, v62
	v_add_f16_e32 v53, v53, v54
	v_fma_f16 v54, v55, s7, v60
	v_pack_b32_f16 v76, v63, v63
	v_mul_f16_e32 v63, 0xb08e, v63
	v_add_f16_e32 v53, v53, v54
	v_fma_f16 v54, v57, s6, v62
	v_add_f16_e32 v53, v53, v54
	v_fma_f16 v54, v59, s10, v63
	s_mov_b32 s27, 0x5040100
	v_add_f16_e32 v53, v53, v54
	v_pk_mul_f16 v54, v6, s18
	v_perm_b32 v66, v41, v41, s27
	v_pack_b32_f16 v71, v55, v55
	v_pk_mul_f16 v72, v55, s28 op_sel_hi:[0,1]
	v_mul_f16_e32 v82, 0xba0c, v55
	v_pk_mul_f16 v55, v67, s20
	v_fma_f16 v86, v64, s4, v54
	v_pk_fma_f16 v54, v64, s11, v54
	v_pack_b32_f16 v74, v57, v57
	v_pk_mul_f16 v75, v57, s29 op_sel_hi:[0,1]
	v_add_f16_e32 v79, v41, v30
	v_mul_f16_e32 v83, 0x3b47, v57
	v_pk_mul_f16 v57, v70, s22
	v_add_f16_e32 v41, v41, v86
	v_fma_f16 v86, v68, s6, v55
	v_pk_add_f16 v54, v66, v54
	v_pk_fma_f16 v55, v68, s16, v55
	v_pack_b32_f16 v77, v59, v59
	v_pk_mul_f16 v78, v59, s30 op_sel_hi:[0,1]
	v_mul_f16_e32 v84, 0xbbeb, v59
	v_pk_mul_f16 v59, v73, s23
	v_pk_add_f16 v54, v54, v55
	v_pk_fma_f16 v55, v71, s17, v57
	v_pk_mul_f16 v85, v76, s24
	v_pk_add_f16 v54, v54, v55
	v_pk_fma_f16 v55, v74, s19, v59
	v_pk_add_f16 v54, v54, v55
	v_pk_fma_f16 v55, v77, s21, v85
	v_add_f16_e32 v79, v79, v29
	v_pk_add_f16 v54, v54, v55
	v_bfi_b32 v48, s25, v56, v48
	v_bfi_b32 v55, s25, v80, v65
	v_add_f16_e32 v79, v79, v28
	v_pk_add_f16 v48, v48, v55 neg_lo:[0,1] neg_hi:[0,1]
	v_bfi_b32 v49, s25, v58, v49
	v_bfi_b32 v55, s25, v81, v69
	v_add_f16_e32 v79, v79, v26
	v_pk_add_f16 v48, v66, v48
	v_pk_add_f16 v49, v49, v55 neg_lo:[0,1] neg_hi:[0,1]
	v_add_f16_e32 v79, v79, v25
	v_pk_add_f16 v48, v48, v49
	v_bfi_b32 v49, s25, v60, v50
	v_bfi_b32 v50, s25, v82, v72
	v_add_f16_e32 v79, v79, v27
	v_pk_add_f16 v49, v49, v50 neg_lo:[0,1] neg_hi:[0,1]
	v_add_f16_e32 v79, v31, v79
	v_pk_add_f16 v48, v48, v49
	v_bfi_b32 v49, s25, v62, v51
	v_bfi_b32 v50, s25, v83, v75
	v_add_f16_e32 v79, v32, v79
	;; [unrolled: 6-line block ×3, first 2 shown]
	v_pk_add_f16 v49, v49, v50 neg_lo:[0,1] neg_hi:[0,1]
	v_pk_add_f16 v51, v48, v49
	v_alignbit_b32 v50, v53, v36, 16
	v_alignbit_b32 v49, v36, v54, 16
	v_pack_b32_f16 v48, v79, v54
	ds_write_b128 v61, v[48:51] offset:2420
	v_pk_mul_f16 v48, v64, s33
	v_pk_fma_f16 v6, v6, s31, v48
	v_pk_mul_f16 v48, v68, s35
	v_pk_add_f16 v6, v66, v6
	v_pk_fma_f16 v48, v67, s34, v48
	v_pk_add_f16 v6, v6, v48
	v_pk_mul_f16 v48, v71, s37
	v_pk_fma_f16 v48, v70, s36, v48
	v_pk_add_f16 v6, v6, v48
	v_pk_mul_f16 v48, v74, s39
	v_pk_fma_f16 v48, v73, s38, v48
	v_add_f16_e32 v41, v41, v86
	v_fma_f16 v86, v71, s42, v57
	v_pk_add_f16 v6, v6, v48
	v_pk_mul_f16 v48, v77, s41
	v_add_f16_e32 v41, v41, v86
	v_fma_f16 v86, v74, s43, v59
	v_pk_fma_f16 v48, v76, s40, v48
	v_add_f16_e32 v41, v41, v86
	v_fma_f16 v86, v77, s44, v85
	v_pk_add_f16 v6, v6, v48
	v_add_f16_e32 v41, v41, v86
	ds_write_b32 v61, v6 offset:2436
	ds_write_b16 v61, v41 offset:2440
.LBB0_15:
	s_or_b64 exec, exec, s[0:1]
	s_movk_i32 s0, 0xffec
	v_mad_i32_i24 v6, v4, s0, v61
	s_waitcnt lgkmcnt(0)
	s_barrier
	ds_read_u16 v54, v6
	ds_read_u16 v55, v6 offset:220
	ds_read_u16 v56, v6 offset:440
	;; [unrolled: 1-line block ×13, first 2 shown]
	v_cmp_gt_u32_e64 s[0:1], 55, v4
	s_and_saveexec_b64 s[4:5], s[0:1]
	s_cbranch_execz .LBB0_17
; %bb.16:
	ds_read_u16 v36, v6 offset:1540
	ds_read_u16 v62, v6 offset:3190
	s_mov_b32 s6, 0x5040100
	s_waitcnt lgkmcnt(0)
	v_perm_b32 v36, v62, v36, s6
.LBB0_17:
	s_or_b64 exec, exec, s[4:5]
	v_add_f16_e32 v62, v35, v43
	v_add_f16_e32 v62, v62, v42
	;; [unrolled: 1-line block ×9, first 2 shown]
	v_sub_f16_e32 v10, v10, v14
	v_add_f16_e32 v62, v62, v47
	v_add_f16_e32 v43, v43, v47
	s_mov_b32 s11, 0xbbad
	v_mul_f16_e32 v47, 0xb482, v10
	v_sub_f16_e32 v8, v8, v12
	v_fma_f16 v63, v43, s11, -v47
	v_add_f16_e32 v42, v42, v46
	s_movk_i32 s10, 0x3abb
	v_mul_f16_e32 v46, 0x3853, v8
	v_sub_f16_e32 v7, v7, v11
	v_add_f16_e32 v63, v63, v35
	v_fma_f16 v64, v42, s10, -v46
	v_add_f16_e32 v40, v40, v45
	s_mov_b32 s6, 0xb93d
	v_mul_f16_e32 v45, 0xba0c, v7
	v_sub_f16_e32 v5, v5, v9
	v_add_f16_e32 v63, v64, v63
	v_fma_f16 v64, v40, s6, -v45
	v_add_f16_e32 v38, v38, v44
	s_movk_i32 s16, 0x36a6
	v_mul_f16_e32 v44, 0x3b47, v5
	s_mov_b32 s19, 0xbb47b853
	v_add_f16_e32 v63, v64, v63
	v_fma_f16 v64, v38, s16, -v44
	v_sub_f16_e32 v2, v2, v3
	s_mov_b32 s17, 0x36a63abb
	v_pk_mul_f16 v3, v10, s19 op_sel_hi:[0,1]
	s_mov_b32 s21, 0xba0cbb47
	v_add_f16_e32 v63, v64, v63
	v_add_f16_e32 v37, v37, v39
	v_fma_f16 v39, v43, s10, v3
	v_pk_fma_f16 v3, v43, s17, v3 op_sel_hi:[0,1,1] neg_lo:[0,0,1] neg_hi:[0,0,1]
	s_mov_b32 s18, 0xb93d36a6
	v_pk_mul_f16 v64, v8, s21 op_sel_hi:[0,1]
	v_pk_add_f16 v3, v3, v35 op_sel_hi:[1,0]
	v_fma_f16 v65, v42, s16, v64
	v_pk_fma_f16 v64, v42, s18, v64 op_sel_hi:[0,1,1] neg_lo:[0,0,1] neg_hi:[0,0,1]
	s_mov_b32 s23, 0x3482bbeb
	v_add_f16_e32 v39, v39, v35
	v_pk_add_f16 v3, v64, v3
	s_mov_b32 s20, 0xbbadb08e
	v_pk_mul_f16 v64, v7, s23 op_sel_hi:[0,1]
	s_mov_b32 s7, 0xb08e
	v_add_f16_e32 v39, v65, v39
	v_fma_f16 v65, v40, s7, v64
	v_pk_fma_f16 v64, v40, s20, v64 op_sel_hi:[0,1,1] neg_lo:[0,0,1] neg_hi:[0,0,1]
	s_mov_b32 s25, 0x3bebba0c
	v_pk_add_f16 v3, v64, v3
	s_mov_b32 s22, 0xb08eb93d
	v_pk_mul_f16 v64, v5, s25 op_sel_hi:[0,1]
	v_add_f16_e32 v39, v65, v39
	v_fma_f16 v65, v38, s6, v64
	v_pk_fma_f16 v64, v38, s22, v64 op_sel_hi:[0,1,1] neg_lo:[0,0,1] neg_hi:[0,0,1]
	s_mov_b32 s26, 0x3853b482
	v_add_f16_e32 v39, v65, v39
	v_pk_add_f16 v3, v64, v3
	v_pk_mul_f16 v64, v37, s24 op_sel_hi:[0,1]
	v_pk_mul_f16 v65, v2, s26 op_sel_hi:[0,1]
	v_add_f16_e32 v64, v64, v65
	s_mov_b32 s4, 0xba0cbbeb
	s_mov_b32 s29, 0xbb47bbeb
	v_add_f16_e32 v64, v64, v39
	v_pk_mul_f16 v39, v10, s4 op_sel_hi:[0,1]
	s_mov_b32 s5, 0x3beb3482
	s_mov_b32 s28, 0x36a6b08e
	v_pk_mul_f16 v10, v10, s29 op_sel_hi:[0,1]
	s_mov_b32 s31, 0xba0c3482
	v_pk_mul_f16 v68, v8, s5 op_sel_hi:[0,1]
	s_mov_b32 s44, 0xb8533b47
	v_pk_fma_f16 v10, v43, s28, v10 op_sel_hi:[0,1,1]
	s_mov_b32 s30, 0xb93dbbad
	v_pk_mul_f16 v8, v8, s31 op_sel_hi:[0,1]
	s_mov_b32 s34, 0x34823b47
	v_pk_mul_f16 v70, v7, s44 op_sel_hi:[0,1]
	s_mov_b32 s45, 0xb482b853
	v_pk_add_f16 v10, v10, v35 op_sel_hi:[1,0]
	v_pk_fma_f16 v8, v42, s30, v8 op_sel_hi:[0,1,1]
	s_mov_b32 s33, 0xbbad36a6
	v_pk_mul_f16 v7, v7, s34 op_sel_hi:[0,1]
	s_mov_b32 s36, 0x3bebb853
	v_pk_fma_f16 v66, v37, s24, v65 op_sel_hi:[0,1,1] neg_lo:[0,0,1] neg_hi:[0,0,1]
	s_mov_b32 s39, 0xb93db08e
	v_pk_mul_f16 v72, v5, s45 op_sel_hi:[0,1]
	v_pk_add_f16 v8, v8, v10
	v_pk_fma_f16 v7, v40, s33, v7 op_sel_hi:[0,1,1]
	s_mov_b32 s35, 0xb08e3abb
	v_pk_mul_f16 v5, v5, s36 op_sel_hi:[0,1]
	v_pk_add_f16 v65, v66, v3
	v_pk_fma_f16 v66, v43, s39, v39 op_sel_hi:[0,1,1] neg_lo:[0,0,1] neg_hi:[0,0,1]
	s_mov_b32 s40, 0xb08ebbad
	v_pk_add_f16 v7, v7, v8
	v_pk_fma_f16 v5, v38, s35, v5 op_sel_hi:[0,1,1]
	s_mov_b32 s38, 0x3853ba0c
	v_pk_add_f16 v66, v66, v35 op_sel_hi:[1,0]
	v_pk_fma_f16 v69, v42, s40, v68 op_sel_hi:[0,1,1] neg_lo:[0,0,1] neg_hi:[0,0,1]
	s_mov_b32 s41, 0x3abb36a6
	s_mov_b32 s46, 0x3b47ba0c
	v_pk_add_f16 v5, v5, v7
	s_mov_b32 s37, 0x3abbb93d
	v_pk_mul_f16 v7, v2, s38 op_sel_hi:[0,1]
	v_pk_add_f16 v66, v69, v66
	v_pk_fma_f16 v71, v40, s41, v70 op_sel_hi:[0,1,1] neg_lo:[0,0,1] neg_hi:[0,0,1]
	s_mov_b32 s42, 0xbbad3abb
	v_pk_mul_f16 v74, v2, s46 op_sel_hi:[0,1]
	v_pk_fma_f16 v7, v37, s37, v7 op_sel_hi:[0,1,1]
	v_mul_f16_e32 v2, 0xbbeb, v2
	v_mul_f16_e32 v14, 0xbbad, v43
	;; [unrolled: 1-line block ×3, first 2 shown]
	v_pk_mul_f16 v3, v43, s39 op_sel_hi:[0,1]
	v_pk_mul_f16 v67, v42, s40 op_sel_hi:[0,1]
	v_pk_add_f16 v66, v71, v66
	v_pk_fma_f16 v73, v38, s42, v72 op_sel_hi:[0,1,1] neg_lo:[0,0,1] neg_hi:[0,0,1]
	s_mov_b32 s43, 0x36a6b93d
	v_pk_add_f16 v42, v7, v5
	v_fma_f16 v7, v37, s7, -v2
	s_mov_b32 s27, 0xffff
	v_pk_add_f16 v66, v73, v66
	v_pk_mul_f16 v73, v37, s43 op_sel_hi:[0,1]
	v_pk_fma_f16 v75, v37, s43, v74 op_sel_hi:[0,1,1] neg_lo:[0,0,1] neg_hi:[0,0,1]
	v_mul_f16_e32 v5, 0xb08e, v37
	v_add_f16_e32 v37, v7, v63
	v_bfi_b32 v3, s27, v14, v3
	v_bfi_b32 v7, s27, v47, v39
	v_pk_add_f16 v3, v3, v7
	v_bfi_b32 v7, s27, v12, v67
	v_bfi_b32 v8, s27, v46, v68
	v_mul_f16_e32 v11, 0xb93d, v40
	v_pk_mul_f16 v69, v40, s41 op_sel_hi:[0,1]
	v_pk_add_f16 v3, v3, v35 op_sel_hi:[1,0]
	v_pk_add_f16 v7, v7, v8
	v_pk_add_f16 v3, v7, v3
	v_bfi_b32 v7, s27, v11, v69
	v_bfi_b32 v8, s27, v45, v70
	v_mul_f16_e32 v9, 0x36a6, v38
	v_pk_mul_f16 v71, v38, s42 op_sel_hi:[0,1]
	v_pk_add_f16 v7, v7, v8
	v_pk_add_f16 v3, v7, v3
	v_bfi_b32 v7, s27, v9, v71
	v_bfi_b32 v8, s27, v44, v72
	v_pk_add_f16 v7, v7, v8
	v_bfi_b32 v5, s27, v5, v73
	v_bfi_b32 v2, s27, v2, v74
	v_sub_f16_e32 v34, v30, v34
	v_pk_add_f16 v3, v7, v3
	v_pk_add_f16 v2, v5, v2
	v_add_f16_e32 v35, v15, v24
	v_sub_f16_e32 v33, v29, v33
	v_pk_mul_f16 v10, v34, s4 op_sel_hi:[0,1]
	v_pk_add_f16 v40, v2, v3
	v_add_f16_e32 v30, v16, v20
	v_sub_f16_e32 v28, v28, v32
	v_pk_fma_f16 v2, v35, s39, v10 op_sel_hi:[0,1,1] neg_lo:[0,0,1] neg_hi:[0,0,1]
	v_pk_mul_f16 v9, v33, s5 op_sel_hi:[0,1]
	v_add_f16_e32 v29, v17, v21
	v_sub_f16_e32 v26, v26, v31
	v_pk_add_f16 v2, v13, v2 op_sel_hi:[0,1]
	v_pk_fma_f16 v3, v30, s40, v9 op_sel_hi:[0,1,1] neg_lo:[0,0,1] neg_hi:[0,0,1]
	v_pk_mul_f16 v8, v28, s44 op_sel_hi:[0,1]
	v_add_f16_e32 v14, v18, v22
	v_pk_add_f16 v2, v2, v3
	v_pk_fma_f16 v3, v29, s41, v8 op_sel_hi:[0,1,1] neg_lo:[0,0,1] neg_hi:[0,0,1]
	v_pk_mul_f16 v7, v26, s45 op_sel_hi:[0,1]
	v_sub_f16_e32 v12, v25, v27
	v_pk_add_f16 v2, v2, v3
	v_pk_fma_f16 v3, v14, s42, v7 op_sel_hi:[0,1,1] neg_lo:[0,0,1] neg_hi:[0,0,1]
	v_add_f16_e32 v11, v19, v23
	v_pk_add_f16 v2, v2, v3
	v_pk_mul_f16 v3, v12, s46 op_sel_hi:[0,1]
	v_pk_add_f16 v38, v75, v66
	v_pk_fma_f16 v5, v11, s43, v3 op_sel_hi:[0,1,1] neg_lo:[0,0,1] neg_hi:[0,0,1]
	v_pk_add_f16 v2, v2, v5
	v_add_u32_e32 v5, 0x6e, v4
	v_alignbit_b32 v39, v37, v38, 16
	v_alignbit_b32 v38, v38, v65, 16
	v_pack_b32_f16 v37, v62, v65
	s_waitcnt lgkmcnt(0)
	s_barrier
	ds_write_b128 v61, v[37:40]
	ds_write_b32 v61, v42 offset:16
	ds_write_b16 v61, v64 offset:20
	s_and_saveexec_b64 s[4:5], s[2:3]
	s_cbranch_execz .LBB0_19
; %bb.18:
	v_add_f16_e32 v15, v13, v15
	v_add_f16_e32 v15, v15, v16
	;; [unrolled: 1-line block ×8, first 2 shown]
	v_mul_f16_e32 v17, 0xb482, v34
	v_add_f16_e32 v15, v20, v15
	v_fma_f16 v18, v35, s11, -v17
	v_mul_f16_e32 v20, 0x3853, v33
	v_add_f16_e32 v18, v13, v18
	v_fma_f16 v21, v30, s10, -v20
	v_mul_f16_e32 v22, 0xba0c, v28
	v_add_f16_e32 v15, v24, v15
	v_add_f16_e32 v18, v18, v21
	v_fma_f16 v23, v29, s6, -v22
	v_mul_f16_e32 v24, 0x3b47, v26
	v_pack_b32_f16 v27, v34, v34
	v_pack_b32_f16 v40, v14, v14
	v_pk_mul_f16 v61, v14, s42 op_sel_hi:[0,1]
	v_add_f16_e32 v18, v18, v23
	v_mul_f16_e32 v23, 0x36a6, v14
	v_fma_f16 v14, v14, s16, -v24
	v_pack_b32_f16 v25, v35, v35
	v_add_f16_e32 v14, v18, v14
	v_pk_mul_f16 v18, v27, s19
	s_mov_b32 s2, 0x5040100
	v_pack_b32_f16 v37, v33, v33
	v_pack_b32_f16 v42, v26, v26
	v_fma_f16 v26, v25, s10, v18
	v_perm_b32 v31, v13, v13, s2
	v_pack_b32_f16 v32, v30, v30
	v_add_f16_e32 v13, v13, v26
	v_pk_fma_f16 v18, v25, s17, v18 neg_lo:[0,0,1] neg_hi:[0,0,1]
	v_pk_mul_f16 v26, v37, s21
	v_pack_b32_f16 v39, v28, v28
	v_pk_add_f16 v18, v31, v18
	v_fma_f16 v28, v32, s16, v26
	v_pk_fma_f16 v26, v32, s18, v26 neg_lo:[0,0,1] neg_hi:[0,0,1]
	v_pack_b32_f16 v38, v29, v29
	v_pk_add_f16 v18, v18, v26
	v_pk_mul_f16 v26, v39, s23
	v_add_f16_e32 v13, v13, v28
	v_fma_f16 v28, v38, s7, v26
	v_pk_fma_f16 v26, v38, s20, v26 neg_lo:[0,0,1] neg_hi:[0,0,1]
	v_pk_add_f16 v18, v18, v26
	v_pk_mul_f16 v26, v42, s25
	v_pack_b32_f16 v43, v11, v11
	v_pack_b32_f16 v44, v12, v12
	v_add_f16_e32 v13, v13, v28
	v_fma_f16 v28, v40, s6, v26
	v_pk_fma_f16 v26, v40, s22, v26 neg_lo:[0,0,1] neg_hi:[0,0,1]
	v_add_f16_e32 v13, v13, v28
	v_pk_add_f16 v18, v18, v26
	v_pk_mul_f16 v26, v43, s24
	v_pk_mul_f16 v28, v44, s26
	v_add_f16_e32 v26, v26, v28
	v_add_f16_e32 v13, v13, v26
	v_pk_mul_f16 v26, v27, s29
	v_pk_fma_f16 v25, v25, s28, v26
	v_pk_mul_f16 v26, v37, s31
	v_pk_add_f16 v25, v31, v25
	v_pk_fma_f16 v26, v32, s30, v26
	v_pk_add_f16 v25, v25, v26
	v_pk_mul_f16 v26, v39, s34
	v_pk_fma_f16 v26, v38, s33, v26
	v_pk_add_f16 v25, v25, v26
	v_pk_mul_f16 v26, v42, s36
	;; [unrolled: 3-line block ×3, first 2 shown]
	v_pk_fma_f16 v26, v43, s37, v26
	v_mul_f16_e32 v12, 0xbbeb, v12
	v_pk_mul_f16 v45, v35, s39 op_sel_hi:[0,1]
	v_pk_mul_f16 v62, v11, s43 op_sel_hi:[0,1]
	v_mul_f16_e32 v16, 0xbbad, v35
	v_pk_add_f16 v25, v25, v26
	v_mul_f16_e32 v26, 0xb08e, v11
	v_fma_f16 v11, v11, s7, -v12
	v_pk_mul_f16 v46, v30, s40 op_sel_hi:[0,1]
	v_mul_f16_e32 v19, 0x3abb, v30
	v_add_f16_e32 v11, v14, v11
	v_bfi_b32 v14, s27, v16, v45
	v_bfi_b32 v10, s27, v17, v10
	v_pk_add_f16 v10, v14, v10
	v_bfi_b32 v14, s27, v19, v46
	v_bfi_b32 v9, s27, v20, v9
	v_pk_mul_f16 v47, v29, s41 op_sel_hi:[0,1]
	v_mul_f16_e32 v21, 0xb93d, v29
	v_pk_add_f16 v10, v31, v10
	v_pk_add_f16 v9, v14, v9
	;; [unrolled: 1-line block ×3, first 2 shown]
	v_bfi_b32 v10, s27, v21, v47
	v_bfi_b32 v8, s27, v22, v8
	v_pk_add_f16 v8, v10, v8
	v_pk_add_f16 v8, v9, v8
	v_bfi_b32 v9, s27, v23, v61
	v_bfi_b32 v7, s27, v24, v7
	v_pk_add_f16 v7, v9, v7
	v_pk_fma_f16 v29, v43, s24, v28 neg_lo:[0,0,1] neg_hi:[0,0,1]
	v_pk_add_f16 v7, v8, v7
	v_bfi_b32 v8, s27, v26, v62
	v_bfi_b32 v3, s27, v12, v3
	v_pk_add_f16 v18, v18, v29
	v_pk_add_f16 v3, v8, v3
	;; [unrolled: 1-line block ×3, first 2 shown]
	v_mad_u32_u24 v3, v5, 22, 0
	v_alignbit_b32 v9, v11, v2, 16
	v_alignbit_b32 v8, v2, v18, 16
	v_pack_b32_f16 v7, v15, v18
	ds_write_b128 v3, v[7:10]
	ds_write_b32 v3, v25 offset:16
	ds_write_b16 v3, v13 offset:20
.LBB0_19:
	s_or_b64 exec, exec, s[4:5]
	s_waitcnt lgkmcnt(0)
	s_barrier
	ds_read_u16 v3, v6
	ds_read_u16 v12, v6 offset:220
	ds_read_u16 v13, v6 offset:440
	;; [unrolled: 1-line block ×13, first 2 shown]
	s_and_saveexec_b64 s[2:3], s[0:1]
	s_cbranch_execz .LBB0_21
; %bb.20:
	ds_read_u16 v2, v6 offset:1540
	ds_read_u16 v7, v6 offset:3190
	s_mov_b32 s4, 0x5040100
	s_waitcnt lgkmcnt(0)
	v_perm_b32 v2, v7, v2, s4
.LBB0_21:
	s_or_b64 exec, exec, s[2:3]
	s_movk_i32 s2, 0x75
	v_mul_lo_u16_sdwa v25, v4, s2 dst_sel:DWORD dst_unused:UNUSED_PAD src0_sel:BYTE_0 src1_sel:DWORD
	v_sub_u16_sdwa v26, v4, v25 dst_sel:DWORD dst_unused:UNUSED_PAD src0_sel:DWORD src1_sel:BYTE_1
	v_lshrrev_b16_e32 v26, 1, v26
	v_and_b32_e32 v26, 0x7f, v26
	v_add_u16_sdwa v25, v26, v25 dst_sel:DWORD dst_unused:UNUSED_PAD src0_sel:DWORD src1_sel:BYTE_1
	v_mul_lo_u16_sdwa v26, v5, s2 dst_sel:DWORD dst_unused:UNUSED_PAD src0_sel:BYTE_0 src1_sel:DWORD
	v_sub_u16_sdwa v28, v5, v26 dst_sel:DWORD dst_unused:UNUSED_PAD src0_sel:DWORD src1_sel:BYTE_1
	v_lshrrev_b16_e32 v28, 1, v28
	v_and_b32_e32 v28, 0x7f, v28
	v_add_u16_sdwa v26, v28, v26 dst_sel:DWORD dst_unused:UNUSED_PAD src0_sel:DWORD src1_sel:BYTE_1
	v_lshrrev_b16_e32 v38, 3, v26
	v_add_u32_e32 v7, 0xdc, v4
	v_mul_lo_u16_e32 v26, 11, v38
	s_mov_b32 s2, 0xba2f
	v_sub_u16_e32 v39, v5, v26
	v_mul_u32_u24_sdwa v26, v7, s2 dst_sel:DWORD dst_unused:UNUSED_PAD src0_sel:WORD_0 src1_sel:DWORD
	v_lshrrev_b32_e32 v40, 19, v26
	v_add_u32_e32 v11, 0x14a, v4
	v_mul_lo_u16_e32 v26, 11, v40
	v_sub_u16_e32 v42, v7, v26
	v_mul_u32_u24_sdwa v26, v11, s2 dst_sel:DWORD dst_unused:UNUSED_PAD src0_sel:WORD_0 src1_sel:DWORD
	v_lshrrev_b32_e32 v43, 19, v26
	v_add_u32_e32 v8, 0x1b8, v4
	v_mul_lo_u16_e32 v26, 11, v43
	;; [unrolled: 5-line block ×4, first 2 shown]
	v_lshrrev_b16_e32 v35, 3, v25
	v_sub_u16_e32 v63, v9, v26
	v_mul_u32_u24_sdwa v26, v10, s2 dst_sel:DWORD dst_unused:UNUSED_PAD src0_sel:WORD_0 src1_sel:DWORD
	v_mul_lo_u16_e32 v25, 11, v35
	v_lshrrev_b32_e32 v64, 19, v26
	v_sub_u16_e32 v37, v4, v25
	v_mov_b32_e32 v25, 2
	v_mul_lo_u16_e32 v26, 11, v64
	v_lshlrev_b32_sdwa v27, v25, v37 dst_sel:DWORD dst_unused:UNUSED_PAD src0_sel:DWORD src1_sel:BYTE_0
	v_lshlrev_b32_e32 v9, 2, v63
	v_sub_u16_e32 v65, v10, v26
	v_lshlrev_b32_sdwa v25, v25, v39 dst_sel:DWORD dst_unused:UNUSED_PAD src0_sel:DWORD src1_sel:BYTE_0
	v_lshlrev_b32_e32 v28, 2, v42
	v_lshlrev_b32_e32 v45, 2, v44
	;; [unrolled: 1-line block ×4, first 2 shown]
	global_load_dword v34, v27, s[8:9]
	global_load_dword v33, v25, s[8:9]
	;; [unrolled: 1-line block ×7, first 2 shown]
	v_add_u32_e32 v9, 0x302, v4
	v_mul_u32_u24_sdwa v25, v9, s2 dst_sel:DWORD dst_unused:UNUSED_PAD src0_sel:WORD_0 src1_sel:DWORD
	v_lshrrev_b32_e32 v61, 19, v25
	v_mul_lo_u16_e32 v25, 11, v61
	v_sub_u16_e32 v66, v9, v25
	v_lshlrev_b32_e32 v25, 2, v66
	global_load_dword v25, v25, s[8:9]
	v_mov_b32_e32 v73, 1
	v_mul_u32_u24_e32 v35, 44, v35
	v_lshlrev_b32_sdwa v37, v73, v37 dst_sel:DWORD dst_unused:UNUSED_PAD src0_sel:DWORD src1_sel:BYTE_0
	v_add3_u32 v35, 0, v35, v37
	v_mul_u32_u24_e32 v37, 44, v38
	v_lshlrev_b32_sdwa v38, v73, v39 dst_sel:DWORD dst_unused:UNUSED_PAD src0_sel:DWORD src1_sel:BYTE_0
	v_add3_u32 v37, 0, v37, v38
	v_mul_u32_u24_e32 v38, 44, v40
	v_lshlrev_b32_e32 v39, 1, v42
	v_add3_u32 v38, 0, v38, v39
	v_mul_u32_u24_e32 v39, 44, v43
	v_lshlrev_b32_e32 v40, 1, v44
	;; [unrolled: 3-line block ×5, first 2 shown]
	v_lshrrev_b32_e32 v27, 16, v2
	v_lshrrev_b32_e32 v28, 16, v36
	s_waitcnt vmcnt(0) lgkmcnt(0)
	s_barrier
	v_mul_f16_sdwa v45, v22, v34 dst_sel:DWORD dst_unused:UNUSED_PAD src0_sel:DWORD src1_sel:WORD_1
	v_mul_f16_sdwa v67, v24, v33 dst_sel:DWORD dst_unused:UNUSED_PAD src0_sel:DWORD src1_sel:WORD_1
	;; [unrolled: 1-line block ×7, first 2 shown]
	v_fma_f16 v45, v51, v34, v45
	v_fma_f16 v67, v53, v33, v67
	;; [unrolled: 1-line block ×7, first 2 shown]
	v_sub_f16_e32 v45, v54, v45
	v_sub_f16_e32 v67, v55, v67
	;; [unrolled: 1-line block ×7, first 2 shown]
	v_fma_f16 v54, v54, 2.0, -v45
	v_fma_f16 v55, v55, 2.0, -v67
	;; [unrolled: 1-line block ×7, first 2 shown]
	ds_write_b16 v35, v54
	ds_write_b16 v35, v45 offset:22
	v_add3_u32 v45, 0, v40, v42
	v_mul_lo_u16_e32 v40, 22, v61
	v_lshlrev_b32_e32 v42, 1, v66
	ds_write_b16 v37, v55
	ds_write_b16 v37, v67 offset:22
	ds_write_b16 v38, v56
	ds_write_b16 v38, v68 offset:22
	;; [unrolled: 2-line block ×6, first 2 shown]
	s_and_saveexec_b64 s[2:3], s[0:1]
	s_cbranch_execz .LBB0_23
; %bb.22:
	v_mul_f16_sdwa v46, v27, v25 dst_sel:DWORD dst_unused:UNUSED_PAD src0_sel:DWORD src1_sel:WORD_1
	v_fma_f16 v46, v28, v25, v46
	v_sub_f16_e32 v46, v36, v46
	v_lshlrev_b32_e32 v47, 1, v40
	v_fma_f16 v36, v36, 2.0, -v46
	v_add3_u32 v47, 0, v42, v47
	ds_write_b16 v47, v36
	ds_write_b16 v47, v46 offset:22
.LBB0_23:
	s_or_b64 exec, exec, s[2:3]
	v_mul_f16_sdwa v36, v51, v34 dst_sel:DWORD dst_unused:UNUSED_PAD src0_sel:DWORD src1_sel:WORD_1
	v_fma_f16 v22, v22, v34, -v36
	v_mul_f16_sdwa v34, v53, v33 dst_sel:DWORD dst_unused:UNUSED_PAD src0_sel:DWORD src1_sel:WORD_1
	v_fma_f16 v24, v24, v33, -v34
	v_mul_f16_sdwa v33, v52, v32 dst_sel:DWORD dst_unused:UNUSED_PAD src0_sel:DWORD src1_sel:WORD_1
	v_fma_f16 v23, v23, v32, -v33
	v_mul_f16_sdwa v32, v50, v31 dst_sel:DWORD dst_unused:UNUSED_PAD src0_sel:DWORD src1_sel:WORD_1
	v_fma_f16 v21, v21, v31, -v32
	v_mul_f16_sdwa v31, v49, v30 dst_sel:DWORD dst_unused:UNUSED_PAD src0_sel:DWORD src1_sel:WORD_1
	v_fma_f16 v20, v20, v30, -v31
	v_mul_f16_sdwa v30, v48, v29 dst_sel:DWORD dst_unused:UNUSED_PAD src0_sel:DWORD src1_sel:WORD_1
	v_fma_f16 v19, v19, v29, -v30
	v_mul_f16_sdwa v29, v41, v26 dst_sel:DWORD dst_unused:UNUSED_PAD src0_sel:DWORD src1_sel:WORD_1
	v_fma_f16 v18, v18, v26, -v29
	v_sub_f16_e32 v30, v3, v22
	v_sub_f16_e32 v33, v13, v23
	;; [unrolled: 1-line block ×6, first 2 shown]
	v_fma_f16 v31, v3, 2.0, -v30
	v_sub_f16_e32 v32, v12, v24
	v_fma_f16 v34, v13, 2.0, -v33
	v_fma_f16 v41, v14, 2.0, -v36
	;; [unrolled: 1-line block ×5, first 2 shown]
	s_waitcnt lgkmcnt(0)
	s_barrier
	ds_read_u16 v19, v6 offset:1320
	ds_read_u16 v18, v6 offset:1540
	ds_read_u16 v16, v6
	ds_read_u16 v15, v6 offset:220
	ds_read_u16 v14, v6 offset:440
	;; [unrolled: 1-line block ×12, first 2 shown]
	v_fma_f16 v12, v12, 2.0, -v32
	s_waitcnt lgkmcnt(0)
	s_barrier
	ds_write_b16 v35, v31
	ds_write_b16 v35, v30 offset:22
	ds_write_b16 v37, v12
	ds_write_b16 v37, v32 offset:22
	;; [unrolled: 2-line block ×7, first 2 shown]
	s_and_saveexec_b64 s[2:3], s[0:1]
	s_cbranch_execz .LBB0_25
; %bb.24:
	v_mul_f16_sdwa v12, v28, v25 dst_sel:DWORD dst_unused:UNUSED_PAD src0_sel:DWORD src1_sel:WORD_1
	v_fma_f16 v12, v27, v25, -v12
	v_sub_f16_e32 v12, v2, v12
	v_lshlrev_b32_e32 v25, 1, v40
	v_fma_f16 v2, v2, 2.0, -v12
	v_add3_u32 v25, 0, v42, v25
	ds_write_b16 v25, v2
	ds_write_b16 v25, v12 offset:22
.LBB0_25:
	s_or_b64 exec, exec, s[2:3]
	v_lshrrev_b16_e32 v2, 1, v4
	v_and_b32_e32 v2, 0x7f, v2
	v_mul_lo_u16_e32 v2, 0xbb, v2
	v_lshrrev_b16_e32 v2, 11, v2
	v_mul_lo_u16_e32 v12, 22, v2
	v_sub_u16_e32 v25, v4, v12
	v_mov_b32_e32 v12, 1
	v_lshrrev_b16_sdwa v30, v12, v5 dst_sel:DWORD dst_unused:UNUSED_PAD src0_sel:DWORD src1_sel:BYTE_0
	v_mul_lo_u16_e32 v30, 0xbb, v30
	s_mov_b32 s0, 0xba2f
	v_lshrrev_b16_e32 v38, 11, v30
	v_mul_u32_u24_sdwa v36, v8, s0 dst_sel:DWORD dst_unused:UNUSED_PAD src0_sel:WORD_0 src1_sel:DWORD
	v_mul_lo_u16_e32 v30, 22, v38
	v_mul_u32_u24_sdwa v31, v7, s0 dst_sel:DWORD dst_unused:UNUSED_PAD src0_sel:WORD_0 src1_sel:DWORD
	v_lshrrev_b32_e32 v44, 20, v36
	v_mov_b32_e32 v27, 3
	v_sub_u16_e32 v39, v5, v30
	v_lshrrev_b32_e32 v40, 20, v31
	v_mul_lo_u16_e32 v36, 22, v44
	v_lshlrev_b32_sdwa v28, v27, v25 dst_sel:DWORD dst_unused:UNUSED_PAD src0_sel:DWORD src1_sel:BYTE_0
	v_lshlrev_b32_sdwa v30, v27, v39 dst_sel:DWORD dst_unused:UNUSED_PAD src0_sel:DWORD src1_sel:BYTE_0
	v_mul_lo_u16_e32 v31, 22, v40
	v_sub_u16_e32 v45, v8, v36
	s_waitcnt lgkmcnt(0)
	s_barrier
	global_load_dwordx2 v[27:28], v28, s[8:9] offset:44
	v_sub_u16_e32 v41, v7, v31
	global_load_dwordx2 v[30:31], v30, s[8:9] offset:44
	v_mul_u32_u24_sdwa v33, v11, s0 dst_sel:DWORD dst_unused:UNUSED_PAD src0_sel:WORD_0 src1_sel:DWORD
	v_lshlrev_b32_e32 v36, 3, v45
	v_lshrrev_b32_e32 v42, 20, v33
	global_load_dwordx2 v[36:37], v36, s[8:9] offset:44
	v_lshlrev_b32_e32 v32, 3, v41
	global_load_dwordx2 v[32:33], v32, s[8:9] offset:44
	v_mul_lo_u16_e32 v34, 22, v42
	v_sub_u16_e32 v43, v11, v34
	v_lshlrev_b32_e32 v34, 3, v43
	global_load_dwordx2 v[34:35], v34, s[8:9] offset:44
	ds_read_u16 v46, v6 offset:1320
	ds_read_u16 v47, v6 offset:1540
	ds_read_u16 v48, v6
	ds_read_u16 v49, v6 offset:220
	ds_read_u16 v50, v6 offset:440
	ds_read_u16 v51, v6 offset:660
	ds_read_u16 v52, v6 offset:1760
	ds_read_u16 v53, v6 offset:1100
	ds_read_u16 v54, v6 offset:880
	ds_read_u16 v55, v6 offset:2420
	ds_read_u16 v56, v6 offset:2640
	ds_read_u16 v57, v6 offset:2860
	ds_read_u16 v58, v6 offset:3080
	ds_read_u16 v59, v6 offset:2200
	ds_read_u16 v60, v6 offset:1980
	s_mov_b32 s0, 0xbaee
	s_movk_i32 s1, 0x3aee
	v_lshlrev_b32_sdwa v25, v12, v25 dst_sel:DWORD dst_unused:UNUSED_PAD src0_sel:DWORD src1_sel:BYTE_0
	v_mul_u32_u24_e32 v2, 0x84, v2
	v_add3_u32 v2, 0, v2, v25
	v_lshlrev_b32_sdwa v39, v12, v39 dst_sel:DWORD dst_unused:UNUSED_PAD src0_sel:DWORD src1_sel:BYTE_0
	s_waitcnt vmcnt(0) lgkmcnt(0)
	s_barrier
	v_lshlrev_b32_e32 v41, 1, v41
	v_lshlrev_b32_e32 v43, 1, v43
	;; [unrolled: 1-line block ×3, first 2 shown]
	s_mov_b32 s2, 0xbb9c
	s_movk_i32 s5, 0x3b9c
	s_mov_b32 s3, 0xb8b4
	s_movk_i32 s6, 0x38b4
	s_movk_i32 s4, 0x34f2
	v_mul_f16_sdwa v61, v53, v27 dst_sel:DWORD dst_unused:UNUSED_PAD src0_sel:DWORD src1_sel:WORD_1
	v_mul_f16_sdwa v63, v59, v28 dst_sel:DWORD dst_unused:UNUSED_PAD src0_sel:DWORD src1_sel:WORD_1
	;; [unrolled: 1-line block ×4, first 2 shown]
	v_fma_f16 v19, v19, v30, v65
	v_fma_f16 v30, v46, v30, -v66
	v_mul_f16_sdwa v46, v60, v36 dst_sel:DWORD dst_unused:UNUSED_PAD src0_sel:DWORD src1_sel:WORD_1
	v_fma_f16 v46, v21, v36, v46
	v_mul_f16_sdwa v21, v21, v36 dst_sel:DWORD dst_unused:UNUSED_PAD src0_sel:DWORD src1_sel:WORD_1
	v_mul_f16_sdwa v62, v26, v27 dst_sel:DWORD dst_unused:UNUSED_PAD src0_sel:DWORD src1_sel:WORD_1
	;; [unrolled: 1-line block ×5, first 2 shown]
	v_fma_f16 v26, v26, v27, v61
	v_fma_f16 v29, v29, v28, v63
	v_fma_f16 v21, v60, v36, -v21
	v_mul_f16_sdwa v36, v58, v37 dst_sel:DWORD dst_unused:UNUSED_PAD src0_sel:DWORD src1_sel:WORD_1
	v_fma_f16 v27, v53, v27, -v62
	v_fma_f16 v28, v59, v28, -v64
	v_fma_f16 v18, v18, v32, v69
	v_fma_f16 v32, v47, v32, -v70
	v_fma_f16 v36, v17, v37, v36
	v_mul_f16_sdwa v17, v17, v37 dst_sel:DWORD dst_unused:UNUSED_PAD src0_sel:DWORD src1_sel:WORD_1
	v_add_f16_e32 v47, v26, v29
	v_mul_f16_sdwa v67, v55, v31 dst_sel:DWORD dst_unused:UNUSED_PAD src0_sel:DWORD src1_sel:WORD_1
	v_mul_f16_sdwa v73, v52, v34 dst_sel:DWORD dst_unused:UNUSED_PAD src0_sel:DWORD src1_sel:WORD_1
	;; [unrolled: 1-line block ×3, first 2 shown]
	v_fma_f16 v17, v58, v37, -v17
	v_add_f16_e32 v37, v16, v26
	v_fma_f16 v16, v47, -0.5, v16
	v_sub_f16_e32 v47, v27, v28
	v_mul_f16_sdwa v68, v24, v31 dst_sel:DWORD dst_unused:UNUSED_PAD src0_sel:DWORD src1_sel:WORD_1
	v_fma_f16 v24, v24, v31, v67
	v_fma_f16 v20, v20, v34, v73
	v_fma_f16 v34, v52, v34, -v74
	v_fma_f16 v52, v47, s0, v16
	v_fma_f16 v16, v47, s1, v16
	v_add_f16_e32 v47, v48, v27
	v_add_f16_e32 v27, v27, v28
	v_fma_f16 v31, v55, v31, -v68
	v_add_f16_e32 v37, v37, v29
	v_fma_f16 v27, v27, -0.5, v48
	v_sub_f16_e32 v26, v26, v29
	v_add_f16_e32 v29, v19, v24
	v_mul_f16_sdwa v71, v56, v33 dst_sel:DWORD dst_unused:UNUSED_PAD src0_sel:DWORD src1_sel:WORD_1
	v_add_f16_e32 v47, v47, v28
	v_fma_f16 v28, v26, s1, v27
	v_fma_f16 v26, v26, s0, v27
	v_add_f16_e32 v27, v15, v19
	v_fma_f16 v15, v29, -0.5, v15
	v_sub_f16_e32 v29, v30, v31
	v_mul_f16_sdwa v72, v23, v33 dst_sel:DWORD dst_unused:UNUSED_PAD src0_sel:DWORD src1_sel:WORD_1
	v_fma_f16 v23, v23, v33, v71
	v_fma_f16 v48, v29, s0, v15
	;; [unrolled: 1-line block ×3, first 2 shown]
	v_add_f16_e32 v29, v49, v30
	v_add_f16_e32 v30, v30, v31
	v_fma_f16 v33, v56, v33, -v72
	v_add_f16_e32 v29, v29, v31
	v_fma_f16 v30, v30, -0.5, v49
	v_sub_f16_e32 v19, v19, v24
	v_add_f16_e32 v31, v18, v23
	v_mul_f16_sdwa v75, v57, v35 dst_sel:DWORD dst_unused:UNUSED_PAD src0_sel:DWORD src1_sel:WORD_1
	v_add_f16_e32 v27, v27, v24
	v_fma_f16 v24, v19, s1, v30
	v_fma_f16 v19, v19, s0, v30
	v_add_f16_e32 v30, v14, v18
	v_fma_f16 v14, v31, -0.5, v14
	v_sub_f16_e32 v31, v32, v33
	v_mul_f16_sdwa v76, v22, v35 dst_sel:DWORD dst_unused:UNUSED_PAD src0_sel:DWORD src1_sel:WORD_1
	v_fma_f16 v22, v22, v35, v75
	v_fma_f16 v49, v31, s0, v14
	;; [unrolled: 1-line block ×3, first 2 shown]
	v_add_f16_e32 v31, v50, v32
	v_add_f16_e32 v32, v32, v33
	v_fma_f16 v35, v57, v35, -v76
	v_add_f16_e32 v31, v31, v33
	v_fma_f16 v32, v32, -0.5, v50
	v_sub_f16_e32 v18, v18, v23
	v_add_f16_e32 v33, v20, v22
	v_add_f16_e32 v30, v30, v23
	v_fma_f16 v23, v18, s1, v32
	v_fma_f16 v18, v18, s0, v32
	v_add_f16_e32 v32, v13, v20
	v_fma_f16 v13, v33, -0.5, v13
	v_sub_f16_e32 v33, v34, v35
	ds_write_b16 v2, v37
	ds_write_b16 v2, v52 offset:44
	ds_write_b16 v2, v16 offset:88
	v_mul_u32_u24_e32 v16, 0x84, v38
	v_fma_f16 v50, v33, s0, v13
	v_fma_f16 v13, v33, s1, v13
	v_add_f16_e32 v33, v51, v34
	v_add_f16_e32 v34, v34, v35
	v_add3_u32 v16, 0, v16, v39
	v_add_f16_e32 v33, v33, v35
	v_fma_f16 v34, v34, -0.5, v51
	v_sub_f16_e32 v20, v20, v22
	v_add_f16_e32 v35, v46, v36
	ds_write_b16 v16, v27
	ds_write_b16 v16, v48 offset:44
	ds_write_b16 v16, v15 offset:88
	v_mul_u32_u24_e32 v15, 0x84, v40
	v_add_f16_e32 v32, v32, v22
	v_fma_f16 v22, v20, s1, v34
	v_fma_f16 v20, v20, s0, v34
	v_add_f16_e32 v34, v3, v46
	v_fma_f16 v3, v35, -0.5, v3
	v_sub_f16_e32 v35, v21, v17
	v_add3_u32 v15, 0, v15, v41
	v_fma_f16 v51, v35, s0, v3
	v_fma_f16 v3, v35, s1, v3
	v_add_f16_e32 v35, v54, v21
	ds_write_b16 v15, v30
	ds_write_b16 v15, v49 offset:44
	ds_write_b16 v15, v14 offset:88
	v_mul_u32_u24_e32 v14, 0x84, v42
	v_add_f16_e32 v35, v35, v17
	v_add_f16_e32 v17, v21, v17
	v_add3_u32 v14, 0, v14, v43
	v_fma_f16 v17, v17, -0.5, v54
	v_sub_f16_e32 v21, v46, v36
	ds_write_b16 v14, v32
	ds_write_b16 v14, v50 offset:44
	ds_write_b16 v14, v13 offset:88
	v_mul_u32_u24_e32 v13, 0x84, v44
	v_add_f16_e32 v34, v34, v36
	v_fma_f16 v36, v21, s1, v17
	v_fma_f16 v17, v21, s0, v17
	v_add3_u32 v13, 0, v13, v45
	s_movk_i32 s0, 0x42
	ds_write_b16 v13, v34
	ds_write_b16 v13, v51 offset:44
	ds_write_b16 v13, v3 offset:88
	s_waitcnt lgkmcnt(0)
	s_barrier
	ds_read_u16 v25, v6
	ds_read_u16 v27, v6 offset:220
	ds_read_u16 v30, v6 offset:880
	ds_read_u16 v32, v6 offset:1540
	ds_read_u16 v34, v6 offset:2200
	ds_read_u16 v37, v6 offset:1320
	ds_read_u16 v38, v6 offset:1100
	ds_read_u16 v39, v6 offset:660
	ds_read_u16 v40, v6 offset:440
	ds_read_u16 v41, v6 offset:2860
	ds_read_u16 v42, v6 offset:3080
	ds_read_u16 v43, v6 offset:2640
	ds_read_u16 v44, v6 offset:2420
	ds_read_u16 v45, v6 offset:1980
	ds_read_u16 v46, v6 offset:1760
	s_waitcnt lgkmcnt(0)
	s_barrier
	ds_write_b16 v2, v47
	ds_write_b16 v2, v28 offset:44
	ds_write_b16 v2, v26 offset:88
	ds_write_b16 v16, v29
	ds_write_b16 v16, v24 offset:44
	ds_write_b16 v16, v19 offset:88
	;; [unrolled: 3-line block ×5, first 2 shown]
	v_add_u32_e32 v2, 0xffffffbe, v4
	v_cmp_gt_u32_e64 s[0:1], s0, v4
	v_cndmask_b32_e64 v26, v2, v4, s[0:1]
	v_lshlrev_b32_e32 v2, 2, v26
	v_mov_b32_e32 v3, 0
	v_lshlrev_b64 v[13:14], 2, v[2:3]
	v_mov_b32_e32 v2, s9
	v_add_co_u32_e64 v13, s[0:1], s8, v13
	v_addc_co_u32_e64 v14, s[0:1], v2, v14, s[0:1]
	s_waitcnt lgkmcnt(0)
	s_barrier
	global_load_dwordx4 v[13:16], v[13:14], off offset:220
	s_movk_i32 s0, 0xf9
	v_mul_lo_u16_sdwa v2, v5, s0 dst_sel:DWORD dst_unused:UNUSED_PAD src0_sel:BYTE_0 src1_sel:DWORD
	v_lshrrev_b16_e32 v2, 14, v2
	v_mul_lo_u16_e32 v17, 0x42, v2
	v_sub_u16_e32 v28, v5, v17
	v_mov_b32_e32 v17, 4
	v_lshlrev_b32_sdwa v17, v17, v28 dst_sel:DWORD dst_unused:UNUSED_PAD src0_sel:DWORD src1_sel:BYTE_0
	global_load_dwordx4 v[17:20], v17, s[8:9] offset:220
	s_mov_b32 s0, 0xf83f
	v_mul_u32_u24_sdwa v21, v7, s0 dst_sel:DWORD dst_unused:UNUSED_PAD src0_sel:WORD_0 src1_sel:DWORD
	v_lshrrev_b32_e32 v29, 22, v21
	v_mul_lo_u16_e32 v21, 0x42, v29
	v_sub_u16_e32 v31, v7, v21
	v_lshlrev_b32_e32 v21, 4, v31
	global_load_dwordx4 v[21:24], v21, s[8:9] offset:220
	ds_read_u16 v33, v6
	ds_read_u16 v35, v6 offset:220
	ds_read_u16 v36, v6 offset:880
	ds_read_u16 v47, v6 offset:1540
	ds_read_u16 v48, v6 offset:2200
	ds_read_u16 v49, v6 offset:1320
	ds_read_u16 v50, v6 offset:1100
	ds_read_u16 v51, v6 offset:660
	ds_read_u16 v52, v6 offset:440
	ds_read_u16 v53, v6 offset:2860
	ds_read_u16 v54, v6 offset:3080
	ds_read_u16 v55, v6 offset:2640
	ds_read_u16 v56, v6 offset:2420
	ds_read_u16 v57, v6 offset:1980
	ds_read_u16 v58, v6 offset:1760
	s_movk_i32 s0, 0x41
	v_cmp_lt_u32_e64 s[0:1], s0, v4
	v_mul_u32_u24_e32 v2, 0x294, v2
	v_lshlrev_b32_sdwa v12, v12, v28 dst_sel:DWORD dst_unused:UNUSED_PAD src0_sel:DWORD src1_sel:BYTE_0
	v_add3_u32 v2, 0, v2, v12
	s_waitcnt vmcnt(0) lgkmcnt(0)
	s_barrier
	v_mul_u32_u24_e32 v12, 0x294, v29
	v_mul_f16_sdwa v59, v51, v13 dst_sel:DWORD dst_unused:UNUSED_PAD src0_sel:DWORD src1_sel:WORD_1
	v_fma_f16 v59, v39, v13, v59
	v_mul_f16_sdwa v39, v39, v13 dst_sel:DWORD dst_unused:UNUSED_PAD src0_sel:DWORD src1_sel:WORD_1
	v_fma_f16 v13, v51, v13, -v39
	v_mul_f16_sdwa v39, v49, v14 dst_sel:DWORD dst_unused:UNUSED_PAD src0_sel:DWORD src1_sel:WORD_1
	v_fma_f16 v39, v37, v14, v39
	v_mul_f16_sdwa v37, v37, v14 dst_sel:DWORD dst_unused:UNUSED_PAD src0_sel:DWORD src1_sel:WORD_1
	v_fma_f16 v14, v49, v14, -v37
	;; [unrolled: 4-line block ×7, first 2 shown]
	v_mul_f16_sdwa v34, v53, v20 dst_sel:DWORD dst_unused:UNUSED_PAD src0_sel:DWORD src1_sel:WORD_1
	v_mul_f16_sdwa v36, v41, v20 dst_sel:DWORD dst_unused:UNUSED_PAD src0_sel:DWORD src1_sel:WORD_1
	v_fma_f16 v34, v41, v20, v34
	v_fma_f16 v20, v53, v20, -v36
	v_mul_f16_sdwa v36, v50, v21 dst_sel:DWORD dst_unused:UNUSED_PAD src0_sel:DWORD src1_sel:WORD_1
	v_fma_f16 v36, v38, v21, v36
	v_mul_f16_sdwa v38, v38, v21 dst_sel:DWORD dst_unused:UNUSED_PAD src0_sel:DWORD src1_sel:WORD_1
	v_fma_f16 v21, v50, v21, -v38
	v_mul_f16_sdwa v38, v58, v22 dst_sel:DWORD dst_unused:UNUSED_PAD src0_sel:DWORD src1_sel:WORD_1
	v_mul_f16_sdwa v41, v46, v22 dst_sel:DWORD dst_unused:UNUSED_PAD src0_sel:DWORD src1_sel:WORD_1
	v_fma_f16 v38, v46, v22, v38
	v_fma_f16 v22, v58, v22, -v41
	v_mul_f16_sdwa v41, v56, v23 dst_sel:DWORD dst_unused:UNUSED_PAD src0_sel:DWORD src1_sel:WORD_1
	v_add_f16_e32 v46, v39, v37
	v_fma_f16 v41, v44, v23, v41
	v_mul_f16_sdwa v44, v44, v23 dst_sel:DWORD dst_unused:UNUSED_PAD src0_sel:DWORD src1_sel:WORD_1
	v_fma_f16 v46, v46, -0.5, v25
	v_sub_f16_e32 v47, v13, v16
	v_fma_f16 v23, v56, v23, -v44
	v_mul_f16_sdwa v44, v54, v24 dst_sel:DWORD dst_unused:UNUSED_PAD src0_sel:DWORD src1_sel:WORD_1
	v_fma_f16 v48, v47, s2, v46
	v_sub_f16_e32 v49, v14, v15
	v_sub_f16_e32 v50, v59, v39
	;; [unrolled: 1-line block ×3, first 2 shown]
	v_fma_f16 v46, v47, s5, v46
	v_fma_f16 v44, v42, v24, v44
	v_mul_f16_sdwa v42, v42, v24 dst_sel:DWORD dst_unused:UNUSED_PAD src0_sel:DWORD src1_sel:WORD_1
	v_fma_f16 v48, v49, s3, v48
	v_add_f16_e32 v50, v50, v51
	v_fma_f16 v46, v49, s6, v46
	v_fma_f16 v24, v54, v24, -v42
	v_add_f16_e32 v42, v25, v59
	v_fma_f16 v48, v50, s4, v48
	v_fma_f16 v46, v50, s4, v46
	v_add_f16_e32 v50, v59, v45
	v_add_f16_e32 v42, v42, v39
	v_fma_f16 v25, v50, -0.5, v25
	v_add_f16_e32 v42, v42, v37
	v_fma_f16 v50, v49, s5, v25
	v_sub_f16_e32 v51, v39, v59
	v_sub_f16_e32 v53, v37, v45
	v_fma_f16 v25, v49, s2, v25
	v_add_f16_e32 v49, v14, v15
	v_add_f16_e32 v42, v42, v45
	v_fma_f16 v50, v47, s3, v50
	v_add_f16_e32 v51, v51, v53
	v_fma_f16 v25, v47, s6, v25
	v_fma_f16 v49, v49, -0.5, v33
	v_sub_f16_e32 v45, v59, v45
	v_fma_f16 v50, v51, s4, v50
	v_fma_f16 v25, v51, s4, v25
	v_fma_f16 v51, v45, s5, v49
	v_sub_f16_e32 v37, v39, v37
	v_fma_f16 v39, v37, s6, v51
	v_sub_f16_e32 v51, v13, v14
	v_sub_f16_e32 v53, v16, v15
	v_fma_f16 v49, v45, s2, v49
	v_add_f16_e32 v51, v51, v53
	v_fma_f16 v49, v37, s3, v49
	v_add_f16_e32 v47, v33, v13
	v_fma_f16 v39, v51, s4, v39
	v_fma_f16 v49, v51, s4, v49
	v_add_f16_e32 v51, v13, v16
	v_add_f16_e32 v47, v47, v14
	v_fma_f16 v33, v51, -0.5, v33
	v_sub_f16_e32 v13, v14, v13
	v_sub_f16_e32 v14, v15, v16
	v_add_f16_e32 v13, v13, v14
	v_fma_f16 v14, v37, s5, v33
	v_fma_f16 v14, v45, s3, v14
	;; [unrolled: 1-line block ×4, first 2 shown]
	v_add_f16_e32 v14, v30, v32
	v_add_f16_e32 v47, v47, v15
	v_fma_f16 v14, v14, -0.5, v27
	v_sub_f16_e32 v15, v17, v20
	v_add_f16_e32 v47, v47, v16
	v_fma_f16 v51, v45, s6, v51
	v_fma_f16 v16, v15, s2, v14
	v_sub_f16_e32 v37, v18, v19
	v_sub_f16_e32 v45, v43, v30
	;; [unrolled: 1-line block ×3, first 2 shown]
	v_fma_f16 v14, v15, s5, v14
	v_fma_f16 v16, v37, s3, v16
	v_add_f16_e32 v45, v45, v53
	v_fma_f16 v14, v37, s6, v14
	v_fma_f16 v51, v13, s4, v51
	v_add_f16_e32 v13, v27, v43
	v_fma_f16 v16, v45, s4, v16
	v_fma_f16 v14, v45, s4, v14
	v_add_f16_e32 v45, v43, v34
	v_add_f16_e32 v13, v13, v30
	v_fma_f16 v27, v45, -0.5, v27
	v_add_f16_e32 v13, v13, v32
	v_fma_f16 v45, v37, s5, v27
	v_fma_f16 v27, v37, s2, v27
	v_add_f16_e32 v37, v18, v19
	v_add_f16_e32 v13, v13, v34
	v_sub_f16_e32 v53, v30, v43
	v_sub_f16_e32 v54, v32, v34
	v_fma_f16 v37, v37, -0.5, v35
	v_sub_f16_e32 v34, v43, v34
	v_fma_f16 v45, v15, s3, v45
	v_add_f16_e32 v53, v53, v54
	v_fma_f16 v15, v15, s6, v27
	v_fma_f16 v43, v34, s5, v37
	v_sub_f16_e32 v30, v30, v32
	v_fma_f16 v45, v53, s4, v45
	v_fma_f16 v15, v53, s4, v15
	;; [unrolled: 1-line block ×3, first 2 shown]
	v_sub_f16_e32 v43, v17, v18
	v_sub_f16_e32 v53, v20, v19
	v_fma_f16 v37, v34, s2, v37
	v_add_f16_e32 v43, v43, v53
	v_fma_f16 v37, v30, s3, v37
	v_add_f16_e32 v27, v35, v17
	v_fma_f16 v32, v43, s4, v32
	v_fma_f16 v37, v43, s4, v37
	v_add_f16_e32 v43, v17, v20
	v_add_f16_e32 v27, v27, v18
	v_fma_f16 v35, v43, -0.5, v35
	v_sub_f16_e32 v17, v18, v17
	v_sub_f16_e32 v18, v19, v20
	v_add_f16_e32 v17, v17, v18
	v_fma_f16 v18, v30, s5, v35
	v_fma_f16 v18, v34, s3, v18
	;; [unrolled: 1-line block ×4, first 2 shown]
	v_add_f16_e32 v18, v38, v41
	v_add_f16_e32 v27, v27, v19
	v_fma_f16 v18, v18, -0.5, v40
	v_sub_f16_e32 v19, v21, v24
	v_add_f16_e32 v27, v27, v20
	v_fma_f16 v43, v34, s6, v43
	v_fma_f16 v20, v19, s2, v18
	v_sub_f16_e32 v34, v22, v23
	v_sub_f16_e32 v35, v36, v38
	;; [unrolled: 1-line block ×3, first 2 shown]
	v_fma_f16 v18, v19, s5, v18
	v_fma_f16 v20, v34, s3, v20
	v_add_f16_e32 v35, v35, v53
	v_fma_f16 v18, v34, s6, v18
	v_fma_f16 v20, v35, s4, v20
	;; [unrolled: 1-line block ×3, first 2 shown]
	v_add_f16_e32 v35, v36, v44
	v_fma_f16 v43, v17, s4, v43
	v_add_f16_e32 v17, v40, v36
	v_fma_f16 v35, v35, -0.5, v40
	v_add_f16_e32 v17, v17, v38
	v_fma_f16 v40, v34, s5, v35
	v_fma_f16 v34, v34, s2, v35
	v_add_f16_e32 v35, v22, v23
	v_add_f16_e32 v17, v17, v41
	v_sub_f16_e32 v53, v38, v36
	v_sub_f16_e32 v54, v41, v44
	v_fma_f16 v35, v35, -0.5, v52
	v_sub_f16_e32 v36, v36, v44
	v_add_f16_e32 v17, v17, v44
	v_fma_f16 v40, v19, s3, v40
	v_add_f16_e32 v53, v53, v54
	v_fma_f16 v19, v19, s6, v34
	v_fma_f16 v44, v36, s5, v35
	v_sub_f16_e32 v38, v38, v41
	v_fma_f16 v40, v53, s4, v40
	v_fma_f16 v19, v53, s4, v19
	;; [unrolled: 1-line block ×3, first 2 shown]
	v_sub_f16_e32 v44, v21, v22
	v_sub_f16_e32 v53, v24, v23
	v_fma_f16 v35, v36, s2, v35
	v_add_f16_e32 v44, v44, v53
	v_fma_f16 v35, v38, s3, v35
	v_add_f16_e32 v34, v52, v21
	v_fma_f16 v41, v44, s4, v41
	v_fma_f16 v35, v44, s4, v35
	v_add_f16_e32 v44, v21, v24
	v_add_f16_e32 v34, v34, v22
	v_fma_f16 v44, v44, -0.5, v52
	v_sub_f16_e32 v21, v22, v21
	v_sub_f16_e32 v22, v23, v24
	v_fma_f16 v52, v38, s2, v44
	v_add_f16_e32 v21, v21, v22
	v_fma_f16 v22, v38, s5, v44
	v_fma_f16 v52, v36, s6, v52
	;; [unrolled: 1-line block ×5, first 2 shown]
	v_mov_b32_e32 v21, 0x294
	v_cndmask_b32_e64 v21, 0, v21, s[0:1]
	v_lshlrev_b32_e32 v22, 1, v26
	v_add3_u32 v38, 0, v21, v22
	ds_write_b16 v38, v42
	ds_write_b16 v38, v48 offset:132
	ds_write_b16 v38, v50 offset:264
	;; [unrolled: 1-line block ×4, first 2 shown]
	ds_write_b16 v2, v13
	ds_write_b16 v2, v16 offset:132
	ds_write_b16 v2, v45 offset:264
	;; [unrolled: 1-line block ×4, first 2 shown]
	v_lshlrev_b32_e32 v13, 1, v31
	v_add_f16_e32 v34, v34, v23
	v_add3_u32 v28, 0, v12, v13
	v_add_f16_e32 v34, v34, v24
	ds_write_b16 v28, v17
	ds_write_b16 v28, v20 offset:132
	ds_write_b16 v28, v40 offset:264
	;; [unrolled: 1-line block ×4, first 2 shown]
	s_waitcnt lgkmcnt(0)
	s_barrier
	ds_read_u16 v12, v6
	ds_read_u16 v17, v6 offset:220
	ds_read_u16 v20, v6 offset:880
	;; [unrolled: 1-line block ×14, first 2 shown]
	s_waitcnt lgkmcnt(0)
	s_barrier
	ds_write_b16 v38, v47
	ds_write_b16 v38, v39 offset:132
	ds_write_b16 v38, v51 offset:264
	ds_write_b16 v38, v33 offset:396
	ds_write_b16 v38, v49 offset:528
	ds_write_b16 v2, v27
	ds_write_b16 v2, v32 offset:132
	ds_write_b16 v2, v43 offset:264
	ds_write_b16 v2, v30 offset:396
	ds_write_b16 v2, v37 offset:528
	;; [unrolled: 5-line block ×3, first 2 shown]
	s_waitcnt lgkmcnt(0)
	s_barrier
	s_and_saveexec_b64 s[0:1], vcc
	s_cbranch_execz .LBB0_27
; %bb.26:
	v_lshlrev_b32_e32 v2, 2, v7
	v_lshlrev_b64 v[27:28], 2, v[2:3]
	v_mov_b32_e32 v35, s9
	v_add_co_u32_e32 v27, vcc, s8, v27
	v_addc_co_u32_e32 v28, vcc, v35, v28, vcc
	global_load_dwordx4 v[27:30], v[27:28], off offset:1276
	v_lshlrev_b32_e32 v2, 2, v5
	v_lshlrev_b64 v[31:32], 2, v[2:3]
	ds_read_u16 v36, v6 offset:1760
	ds_read_u16 v37, v6 offset:1540
	;; [unrolled: 1-line block ×14, first 2 shown]
	v_add_co_u32_e32 v31, vcc, s8, v31
	v_addc_co_u32_e32 v32, vcc, v35, v32, vcc
	global_load_dwordx4 v[31:34], v[31:32], off offset:1276
	ds_read_u16 v6, v6
	s_waitcnt vmcnt(1)
	v_mul_f16_sdwa v2, v23, v27 dst_sel:DWORD dst_unused:UNUSED_PAD src0_sel:DWORD src1_sel:WORD_1
	v_mul_f16_sdwa v50, v26, v28 dst_sel:DWORD dst_unused:UNUSED_PAD src0_sel:DWORD src1_sel:WORD_1
	;; [unrolled: 1-line block ×4, first 2 shown]
	s_waitcnt lgkmcnt(11)
	v_mul_f16_sdwa v53, v39, v27 dst_sel:DWORD dst_unused:UNUSED_PAD src0_sel:DWORD src1_sel:WORD_1
	s_waitcnt lgkmcnt(6)
	v_mul_f16_sdwa v54, v44, v30 dst_sel:DWORD dst_unused:UNUSED_PAD src0_sel:DWORD src1_sel:WORD_1
	v_mul_f16_sdwa v55, v36, v28 dst_sel:DWORD dst_unused:UNUSED_PAD src0_sel:DWORD src1_sel:WORD_1
	s_waitcnt lgkmcnt(3)
	v_mul_f16_sdwa v56, v47, v29 dst_sel:DWORD dst_unused:UNUSED_PAD src0_sel:DWORD src1_sel:WORD_1
	v_fma_f16 v2, v39, v27, -v2
	v_fma_f16 v36, v36, v28, -v50
	;; [unrolled: 1-line block ×4, first 2 shown]
	v_fma_f16 v27, v23, v27, v53
	v_fma_f16 v30, v25, v30, v54
	;; [unrolled: 1-line block ×4, first 2 shown]
	v_sub_f16_e32 v23, v2, v36
	v_sub_f16_e32 v53, v2, v39
	;; [unrolled: 1-line block ×3, first 2 shown]
	v_add_f16_e32 v57, v2, v39
	v_add_f16_e32 v2, v2, v42
	v_sub_f16_e32 v24, v39, v44
	v_add_f16_e32 v25, v36, v44
	v_sub_f16_e32 v50, v27, v28
	v_sub_f16_e32 v51, v30, v29
	v_add_f16_e32 v52, v28, v29
	v_sub_f16_e32 v54, v36, v44
	v_sub_f16_e32 v56, v44, v39
	v_add_f16_e32 v60, v27, v30
	v_add_f16_e32 v36, v36, v2
	v_lshlrev_b32_e32 v2, 2, v4
	v_sub_f16_e32 v26, v27, v30
	v_sub_f16_e32 v47, v28, v29
	;; [unrolled: 1-line block ×4, first 2 shown]
	v_add_f16_e32 v23, v23, v24
	v_fma_f16 v24, v25, -0.5, v42
	v_add_f16_e32 v25, v50, v51
	v_fma_f16 v50, v52, -0.5, v22
	;; [unrolled: 2-line block ×3, first 2 shown]
	v_fma_f16 v56, v60, -0.5, v22
	v_lshlrev_b64 v[2:3], 2, v[2:3]
	v_add_f16_e32 v55, v58, v59
	v_fma_f16 v57, v26, s2, v24
	v_fma_f16 v59, v47, s5, v52
	v_fma_f16 v60, v54, s2, v56
	v_fma_f16 v52, v47, s2, v52
	v_fma_f16 v56, v54, s5, v56
	v_fma_f16 v24, v26, s5, v24
	v_fma_f16 v58, v53, s5, v50
	v_fma_f16 v50, v53, s2, v50
	v_fma_f16 v57, v47, s3, v57
	v_fma_f16 v59, v26, s3, v59
	v_fma_f16 v60, v53, s6, v60
	v_fma_f16 v26, v26, s6, v52
	v_fma_f16 v52, v53, s3, v56
	v_fma_f16 v24, v47, s6, v24
	v_add_co_u32_e32 v2, vcc, s8, v2
	v_fma_f16 v58, v54, s6, v58
	v_fma_f16 v47, v23, s4, v57
	;; [unrolled: 1-line block ×6, first 2 shown]
	v_addc_co_u32_e32 v3, vcc, v35, v3, vcc
	v_fma_f16 v53, v25, s4, v58
	v_fma_f16 v56, v51, s4, v59
	;; [unrolled: 1-line block ×4, first 2 shown]
	global_load_dwordx4 v[23:26], v[2:3], off offset:1276
	v_add_f16_e32 v2, v44, v36
	v_add_f16_e32 v35, v39, v2
	;; [unrolled: 1-line block ×6, first 2 shown]
	s_waitcnt vmcnt(1)
	v_mul_f16_sdwa v2, v20, v31 dst_sel:DWORD dst_unused:UNUSED_PAD src0_sel:DWORD src1_sel:WORD_1
	v_mul_f16_sdwa v3, v19, v32 dst_sel:DWORD dst_unused:UNUSED_PAD src0_sel:DWORD src1_sel:WORD_1
	;; [unrolled: 1-line block ×4, first 2 shown]
	v_fma_f16 v2, v40, v31, -v2
	v_fma_f16 v3, v37, v32, -v3
	;; [unrolled: 1-line block ×3, first 2 shown]
	s_waitcnt lgkmcnt(2)
	v_fma_f16 v29, v48, v33, -v29
	v_mul_f16_sdwa v36, v40, v31 dst_sel:DWORD dst_unused:UNUSED_PAD src0_sel:DWORD src1_sel:WORD_1
	v_sub_f16_e32 v42, v3, v2
	v_sub_f16_e32 v44, v29, v28
	;; [unrolled: 1-line block ×4, first 2 shown]
	v_fma_f16 v20, v20, v31, v36
	v_mul_f16_sdwa v31, v45, v34 dst_sel:DWORD dst_unused:UNUSED_PAD src0_sel:DWORD src1_sel:WORD_1
	v_mul_f16_sdwa v36, v37, v32 dst_sel:DWORD dst_unused:UNUSED_PAD src0_sel:DWORD src1_sel:WORD_1
	v_sub_f16_e32 v37, v2, v28
	v_add_f16_e32 v42, v42, v44
	v_add_f16_e32 v44, v2, v28
	;; [unrolled: 1-line block ×5, first 2 shown]
	v_fma_f16 v21, v21, v34, v31
	v_fma_f16 v19, v19, v32, v36
	v_mul_f16_sdwa v32, v48, v33 dst_sel:DWORD dst_unused:UNUSED_PAD src0_sel:DWORD src1_sel:WORD_1
	v_add_f16_e32 v2, v3, v2
	v_fma_f16 v30, v30, -0.5, v43
	v_sub_f16_e32 v31, v20, v21
	v_fma_f16 v18, v18, v33, v32
	v_add_f16_e32 v2, v29, v2
	v_fma_f16 v34, v31, s2, v30
	v_sub_f16_e32 v32, v19, v18
	v_add_f16_e32 v28, v28, v2
	v_add_f16_e32 v2, v17, v20
	v_fma_f16 v33, v32, s3, v34
	v_sub_f16_e32 v34, v20, v19
	v_sub_f16_e32 v36, v21, v18
	;; [unrolled: 1-line block ×4, first 2 shown]
	v_add_f16_e32 v2, v2, v19
	v_add_f16_e32 v34, v34, v36
	v_add_f16_e32 v36, v19, v18
	v_add_f16_e32 v48, v48, v54
	v_add_f16_e32 v54, v20, v21
	v_add_f16_e32 v2, v2, v18
	v_fma_f16 v36, v36, -0.5, v17
	v_sub_f16_e32 v40, v3, v29
	v_fma_f16 v54, v54, -0.5, v17
	v_add_f16_e32 v17, v21, v2
	v_fma_f16 v44, v44, -0.5, v43
	v_fma_f16 v45, v32, s5, v44
	v_fma_f16 v44, v32, s2, v44
	;; [unrolled: 1-line block ×22, first 2 shown]
	s_waitcnt vmcnt(0)
	v_mul_f16_sdwa v2, v14, v23 dst_sel:DWORD dst_unused:UNUSED_PAD src0_sel:DWORD src1_sel:WORD_1
	v_mul_f16_sdwa v3, v13, v24 dst_sel:DWORD dst_unused:UNUSED_PAD src0_sel:DWORD src1_sel:WORD_1
	;; [unrolled: 1-line block ×4, first 2 shown]
	v_fma_f16 v2, v41, v23, -v2
	v_fma_f16 v3, v38, v24, -v3
	;; [unrolled: 1-line block ×3, first 2 shown]
	s_waitcnt lgkmcnt(1)
	v_fma_f16 v20, v49, v25, -v20
	v_mul_f16_sdwa v29, v41, v23 dst_sel:DWORD dst_unused:UNUSED_PAD src0_sel:DWORD src1_sel:WORD_1
	v_sub_f16_e32 v18, v2, v3
	v_sub_f16_e32 v21, v19, v20
	v_fma_f16 v14, v14, v23, v29
	v_mul_f16_sdwa v23, v46, v26 dst_sel:DWORD dst_unused:UNUSED_PAD src0_sel:DWORD src1_sel:WORD_1
	v_mul_f16_sdwa v29, v38, v24 dst_sel:DWORD dst_unused:UNUSED_PAD src0_sel:DWORD src1_sel:WORD_1
	v_add_f16_e32 v18, v18, v21
	v_add_f16_e32 v21, v3, v20
	v_fma_f16 v16, v16, v26, v23
	v_fma_f16 v24, v13, v24, v29
	v_mul_f16_sdwa v13, v49, v25 dst_sel:DWORD dst_unused:UNUSED_PAD src0_sel:DWORD src1_sel:WORD_1
	s_waitcnt lgkmcnt(0)
	v_fma_f16 v21, v21, -0.5, v6
	v_sub_f16_e32 v23, v14, v16
	v_fma_f16 v15, v15, v25, v13
	v_fma_f16 v26, v23, s2, v21
	v_sub_f16_e32 v13, v24, v15
	v_sub_f16_e32 v36, v3, v2
	;; [unrolled: 1-line block ×3, first 2 shown]
	v_fma_f16 v25, v13, s3, v26
	v_sub_f16_e32 v26, v14, v24
	v_sub_f16_e32 v29, v16, v15
	;; [unrolled: 1-line block ×3, first 2 shown]
	v_add_f16_e32 v36, v36, v37
	v_add_f16_e32 v37, v2, v19
	;; [unrolled: 1-line block ×5, first 2 shown]
	v_sub_f16_e32 v34, v3, v20
	v_fma_f16 v37, v37, -0.5, v6
	v_fma_f16 v21, v23, s5, v21
	v_add_f16_e32 v6, v3, v2
	v_mad_u64_u32 v[2:3], s[0:1], s12, v4, 0
	v_fma_f16 v29, v29, -0.5, v12
	v_fma_f16 v38, v13, s5, v37
	v_fma_f16 v37, v13, s2, v37
	;; [unrolled: 1-line block ×4, first 2 shown]
	v_sub_f16_e32 v40, v24, v14
	v_sub_f16_e32 v41, v15, v16
	v_fma_f16 v18, v18, s4, v13
	v_fma_f16 v13, v31, s2, v29
	v_add_f16_e32 v40, v40, v41
	v_add_f16_e32 v41, v14, v16
	v_fma_f16 v13, v34, s3, v13
	v_fma_f16 v41, v41, -0.5, v12
	v_fma_f16 v21, v26, s4, v13
	v_add_f16_e32 v14, v12, v14
	v_mad_u64_u32 v[12:13], s[0:1], s13, v4, v[3:4]
	v_add_f16_e32 v3, v14, v24
	v_add_f16_e32 v3, v3, v15
	;; [unrolled: 1-line block ×3, first 2 shown]
	v_mov_b32_e32 v3, v12
	v_mad_u64_u32 v[12:13], s[0:1], s12, v11, 0
	v_mov_b32_e32 v15, s15
	v_add_co_u32_e32 v16, vcc, s14, v0
	v_addc_co_u32_e32 v15, vcc, v15, v1, vcc
	v_lshlrev_b64 v[0:1], 2, v[2:3]
	v_mov_b32_e32 v2, v13
	v_mad_u64_u32 v[2:3], s[0:1], s13, v11, v[2:3]
	v_add_f16_e32 v6, v20, v6
	v_add_f16_e32 v6, v19, v6
	v_add_co_u32_e32 v0, vcc, v16, v0
	v_addc_co_u32_e32 v1, vcc, v15, v1, vcc
	v_pack_b32_f16 v3, v14, v6
	global_store_dword v[0:1], v3, off
	v_mov_b32_e32 v13, v2
	v_mad_u64_u32 v[2:3], s[0:1], s12, v10, 0
	v_lshlrev_b64 v[0:1], 2, v[12:13]
	v_add_u32_e32 v13, 0x3de, v4
	v_mad_u64_u32 v[10:11], s[0:1], s13, v10, v[3:4]
	v_mad_u64_u32 v[11:12], s[0:1], s12, v13, 0
	v_add_co_u32_e32 v0, vcc, v16, v0
	v_addc_co_u32_e32 v1, vcc, v15, v1, vcc
	v_pack_b32_f16 v6, v21, v18
	v_mov_b32_e32 v3, v10
	v_fma_f16 v38, v23, s3, v38
	v_fma_f16 v37, v23, s6, v37
	global_store_dword v[0:1], v6, off
	v_lshlrev_b64 v[0:1], 2, v[2:3]
	v_mov_b32_e32 v2, v12
	v_fma_f16 v38, v36, s4, v38
	v_fma_f16 v36, v36, s4, v37
	;; [unrolled: 1-line block ×3, first 2 shown]
	v_mad_u64_u32 v[2:3], s[0:1], s13, v13, v[2:3]
	v_fma_f16 v37, v31, s3, v37
	v_fma_f16 v37, v40, s4, v37
	v_add_co_u32_e32 v0, vcc, v16, v0
	v_addc_co_u32_e32 v1, vcc, v15, v1, vcc
	v_pack_b32_f16 v3, v37, v36
	v_add_u32_e32 v6, 0x528, v4
	global_store_dword v[0:1], v3, off
	v_mov_b32_e32 v12, v2
	v_mad_u64_u32 v[2:3], s[0:1], s12, v6, 0
	v_fma_f16 v43, v34, s2, v41
	v_lshlrev_b64 v[0:1], 2, v[11:12]
	v_mad_u64_u32 v[10:11], s[0:1], s13, v6, v[3:4]
	v_fma_f16 v43, v31, s6, v43
	v_fma_f16 v43, v40, s4, v43
	v_add_co_u32_e32 v0, vcc, v16, v0
	v_addc_co_u32_e32 v1, vcc, v15, v1, vcc
	v_pack_b32_f16 v3, v43, v38
	global_store_dword v[0:1], v3, off
	v_mov_b32_e32 v3, v10
	v_lshlrev_b64 v[0:1], 2, v[2:3]
	v_mad_u64_u32 v[2:3], s[0:1], s12, v5, 0
	v_fma_f16 v32, v31, s5, v29
	v_mad_u64_u32 v[10:11], s[0:1], s12, v8, 0
	v_mad_u64_u32 v[5:6], s[0:1], s13, v5, v[3:4]
	v_fma_f16 v32, v34, s6, v32
	v_fma_f16 v32, v26, s4, v32
	v_add_co_u32_e32 v0, vcc, v16, v0
	v_addc_co_u32_e32 v1, vcc, v15, v1, vcc
	v_pack_b32_f16 v12, v32, v25
	v_mov_b32_e32 v3, v5
	global_store_dword v[0:1], v12, off
	v_lshlrev_b64 v[0:1], 2, v[2:3]
	v_mov_b32_e32 v2, v11
	v_mad_u64_u32 v[2:3], s[0:1], s13, v8, v[2:3]
	v_add_co_u32_e32 v0, vcc, v16, v0
	v_addc_co_u32_e32 v1, vcc, v15, v1, vcc
	v_pack_b32_f16 v3, v17, v28
	global_store_dword v[0:1], v3, off
	v_mov_b32_e32 v11, v2
	v_mad_u64_u32 v[2:3], s[0:1], s12, v9, 0
	v_lshlrev_b64 v[0:1], 2, v[10:11]
	v_pack_b32_f16 v10, v30, v27
	v_mad_u64_u32 v[5:6], s[0:1], s13, v9, v[3:4]
	v_add_u32_e32 v6, 0x44c, v4
	v_mad_u64_u32 v[8:9], s[0:1], s12, v6, 0
	v_add_co_u32_e32 v0, vcc, v16, v0
	v_addc_co_u32_e32 v1, vcc, v15, v1, vcc
	v_mov_b32_e32 v3, v5
	global_store_dword v[0:1], v10, off
	v_lshlrev_b64 v[0:1], 2, v[2:3]
	v_mov_b32_e32 v2, v9
	v_mad_u64_u32 v[2:3], s[0:1], s13, v6, v[2:3]
	v_add_co_u32_e32 v0, vcc, v16, v0
	v_addc_co_u32_e32 v1, vcc, v15, v1, vcc
	v_pack_b32_f16 v3, v44, v42
	v_add_u32_e32 v4, 0x596, v4
	global_store_dword v[0:1], v3, off
	v_mov_b32_e32 v9, v2
	v_mad_u64_u32 v[2:3], s[0:1], s12, v4, 0
	s_mov_b32 s0, 0x634c0635
	v_mul_hi_u32 v5, v7, s0
	v_mad_u64_u32 v[3:4], s[0:1], s13, v4, v[3:4]
	s_movk_i32 s2, 0x528
	v_lshrrev_b32_e32 v4, 7, v5
	v_mad_u32_u24 v7, v4, s2, v7
	v_lshlrev_b64 v[0:1], 2, v[8:9]
	v_mad_u64_u32 v[4:5], s[0:1], s12, v7, 0
	v_add_co_u32_e32 v0, vcc, v16, v0
	v_addc_co_u32_e32 v1, vcc, v15, v1, vcc
	v_pack_b32_f16 v6, v58, v45
	global_store_dword v[0:1], v6, off
	v_lshlrev_b64 v[0:1], 2, v[2:3]
	v_mov_b32_e32 v2, v5
	v_mad_u64_u32 v[2:3], s[0:1], s13, v7, v[2:3]
	v_add_co_u32_e32 v0, vcc, v16, v0
	v_addc_co_u32_e32 v1, vcc, v15, v1, vcc
	v_pack_b32_f16 v3, v39, v33
	v_mov_b32_e32 v5, v2
	global_store_dword v[0:1], v3, off
	v_lshlrev_b64 v[0:1], 2, v[4:5]
	v_add_u32_e32 v4, 0x14a, v7
	v_mad_u64_u32 v[2:3], s[0:1], s12, v4, 0
	v_add_u32_e32 v8, 0x294, v7
	v_add_co_u32_e32 v0, vcc, v16, v0
	v_mad_u64_u32 v[3:4], s[0:1], s13, v4, v[3:4]
	v_mad_u64_u32 v[4:5], s[0:1], s12, v8, 0
	v_addc_co_u32_e32 v1, vcc, v15, v1, vcc
	v_pack_b32_f16 v6, v22, v35
	global_store_dword v[0:1], v6, off
	v_lshlrev_b64 v[0:1], 2, v[2:3]
	v_mov_b32_e32 v2, v5
	v_mad_u64_u32 v[2:3], s[0:1], s13, v8, v[2:3]
	v_add_co_u32_e32 v0, vcc, v16, v0
	v_addc_co_u32_e32 v1, vcc, v15, v1, vcc
	v_pack_b32_f16 v3, v50, v55
	v_mov_b32_e32 v5, v2
	global_store_dword v[0:1], v3, off
	v_lshlrev_b64 v[0:1], 2, v[4:5]
	v_add_u32_e32 v4, 0x3de, v7
	v_mad_u64_u32 v[2:3], s[0:1], s12, v4, 0
	v_add_u32_e32 v7, 0x528, v7
	v_add_co_u32_e32 v0, vcc, v16, v0
	v_mad_u64_u32 v[3:4], s[0:1], s13, v4, v[3:4]
	v_mad_u64_u32 v[4:5], s[0:1], s12, v7, 0
	v_addc_co_u32_e32 v1, vcc, v15, v1, vcc
	v_pack_b32_f16 v6, v52, v51
	global_store_dword v[0:1], v6, off
	v_lshlrev_b64 v[0:1], 2, v[2:3]
	v_mov_b32_e32 v2, v5
	v_mad_u64_u32 v[2:3], s[0:1], s13, v7, v[2:3]
	v_add_co_u32_e32 v0, vcc, v16, v0
	v_addc_co_u32_e32 v1, vcc, v15, v1, vcc
	v_pack_b32_f16 v3, v57, v56
	v_mov_b32_e32 v5, v2
	global_store_dword v[0:1], v3, off
	v_lshlrev_b64 v[0:1], 2, v[4:5]
	v_pack_b32_f16 v2, v53, v47
	v_add_co_u32_e32 v0, vcc, v16, v0
	v_addc_co_u32_e32 v1, vcc, v15, v1, vcc
	global_store_dword v[0:1], v2, off
.LBB0_27:
	s_endpgm
	.section	.rodata,"a",@progbits
	.p2align	6, 0x0
	.amdhsa_kernel fft_rtc_back_len1650_factors_11_2_3_5_5_wgs_110_tpt_110_halfLds_half_ip_CI_sbrr_dirReg
		.amdhsa_group_segment_fixed_size 0
		.amdhsa_private_segment_fixed_size 0
		.amdhsa_kernarg_size 88
		.amdhsa_user_sgpr_count 6
		.amdhsa_user_sgpr_private_segment_buffer 1
		.amdhsa_user_sgpr_dispatch_ptr 0
		.amdhsa_user_sgpr_queue_ptr 0
		.amdhsa_user_sgpr_kernarg_segment_ptr 1
		.amdhsa_user_sgpr_dispatch_id 0
		.amdhsa_user_sgpr_flat_scratch_init 0
		.amdhsa_user_sgpr_private_segment_size 0
		.amdhsa_uses_dynamic_stack 0
		.amdhsa_system_sgpr_private_segment_wavefront_offset 0
		.amdhsa_system_sgpr_workgroup_id_x 1
		.amdhsa_system_sgpr_workgroup_id_y 0
		.amdhsa_system_sgpr_workgroup_id_z 0
		.amdhsa_system_sgpr_workgroup_info 0
		.amdhsa_system_vgpr_workitem_id 0
		.amdhsa_next_free_vgpr 87
		.amdhsa_next_free_sgpr 47
		.amdhsa_reserve_vcc 1
		.amdhsa_reserve_flat_scratch 0
		.amdhsa_float_round_mode_32 0
		.amdhsa_float_round_mode_16_64 0
		.amdhsa_float_denorm_mode_32 3
		.amdhsa_float_denorm_mode_16_64 3
		.amdhsa_dx10_clamp 1
		.amdhsa_ieee_mode 1
		.amdhsa_fp16_overflow 0
		.amdhsa_exception_fp_ieee_invalid_op 0
		.amdhsa_exception_fp_denorm_src 0
		.amdhsa_exception_fp_ieee_div_zero 0
		.amdhsa_exception_fp_ieee_overflow 0
		.amdhsa_exception_fp_ieee_underflow 0
		.amdhsa_exception_fp_ieee_inexact 0
		.amdhsa_exception_int_div_zero 0
	.end_amdhsa_kernel
	.text
.Lfunc_end0:
	.size	fft_rtc_back_len1650_factors_11_2_3_5_5_wgs_110_tpt_110_halfLds_half_ip_CI_sbrr_dirReg, .Lfunc_end0-fft_rtc_back_len1650_factors_11_2_3_5_5_wgs_110_tpt_110_halfLds_half_ip_CI_sbrr_dirReg
                                        ; -- End function
	.section	.AMDGPU.csdata,"",@progbits
; Kernel info:
; codeLenInByte = 15176
; NumSgprs: 51
; NumVgprs: 87
; ScratchSize: 0
; MemoryBound: 0
; FloatMode: 240
; IeeeMode: 1
; LDSByteSize: 0 bytes/workgroup (compile time only)
; SGPRBlocks: 6
; VGPRBlocks: 21
; NumSGPRsForWavesPerEU: 51
; NumVGPRsForWavesPerEU: 87
; Occupancy: 2
; WaveLimiterHint : 1
; COMPUTE_PGM_RSRC2:SCRATCH_EN: 0
; COMPUTE_PGM_RSRC2:USER_SGPR: 6
; COMPUTE_PGM_RSRC2:TRAP_HANDLER: 0
; COMPUTE_PGM_RSRC2:TGID_X_EN: 1
; COMPUTE_PGM_RSRC2:TGID_Y_EN: 0
; COMPUTE_PGM_RSRC2:TGID_Z_EN: 0
; COMPUTE_PGM_RSRC2:TIDIG_COMP_CNT: 0
	.type	__hip_cuid_59c1f489f08ef02f,@object ; @__hip_cuid_59c1f489f08ef02f
	.section	.bss,"aw",@nobits
	.globl	__hip_cuid_59c1f489f08ef02f
__hip_cuid_59c1f489f08ef02f:
	.byte	0                               ; 0x0
	.size	__hip_cuid_59c1f489f08ef02f, 1

	.ident	"AMD clang version 19.0.0git (https://github.com/RadeonOpenCompute/llvm-project roc-6.4.0 25133 c7fe45cf4b819c5991fe208aaa96edf142730f1d)"
	.section	".note.GNU-stack","",@progbits
	.addrsig
	.addrsig_sym __hip_cuid_59c1f489f08ef02f
	.amdgpu_metadata
---
amdhsa.kernels:
  - .args:
      - .actual_access:  read_only
        .address_space:  global
        .offset:         0
        .size:           8
        .value_kind:     global_buffer
      - .offset:         8
        .size:           8
        .value_kind:     by_value
      - .actual_access:  read_only
        .address_space:  global
        .offset:         16
        .size:           8
        .value_kind:     global_buffer
      - .actual_access:  read_only
        .address_space:  global
        .offset:         24
        .size:           8
        .value_kind:     global_buffer
      - .offset:         32
        .size:           8
        .value_kind:     by_value
      - .actual_access:  read_only
        .address_space:  global
        .offset:         40
        .size:           8
        .value_kind:     global_buffer
      - .actual_access:  read_only
        .address_space:  global
        .offset:         48
        .size:           8
        .value_kind:     global_buffer
      - .offset:         56
        .size:           4
        .value_kind:     by_value
      - .actual_access:  read_only
        .address_space:  global
        .offset:         64
        .size:           8
        .value_kind:     global_buffer
      - .actual_access:  read_only
        .address_space:  global
        .offset:         72
        .size:           8
        .value_kind:     global_buffer
      - .address_space:  global
        .offset:         80
        .size:           8
        .value_kind:     global_buffer
    .group_segment_fixed_size: 0
    .kernarg_segment_align: 8
    .kernarg_segment_size: 88
    .language:       OpenCL C
    .language_version:
      - 2
      - 0
    .max_flat_workgroup_size: 110
    .name:           fft_rtc_back_len1650_factors_11_2_3_5_5_wgs_110_tpt_110_halfLds_half_ip_CI_sbrr_dirReg
    .private_segment_fixed_size: 0
    .sgpr_count:     51
    .sgpr_spill_count: 0
    .symbol:         fft_rtc_back_len1650_factors_11_2_3_5_5_wgs_110_tpt_110_halfLds_half_ip_CI_sbrr_dirReg.kd
    .uniform_work_group_size: 1
    .uses_dynamic_stack: false
    .vgpr_count:     87
    .vgpr_spill_count: 0
    .wavefront_size: 64
amdhsa.target:   amdgcn-amd-amdhsa--gfx906
amdhsa.version:
  - 1
  - 2
...

	.end_amdgpu_metadata
